;; amdgpu-corpus repo=ggml-org/llama.cpp kind=compiled arch=gfx906 opt=O3
	.amdgcn_target "amdgcn-amd-amdhsa--gfx906"
	.amdhsa_code_object_version 6
	.section	.text._ZL16k_get_rows_floatI6__halffEvPKT_PKiPT0_ll15HIP_vector_typeIjLj3EEmmmmmmmmm,"axG",@progbits,_ZL16k_get_rows_floatI6__halffEvPKT_PKiPT0_ll15HIP_vector_typeIjLj3EEmmmmmmmmm,comdat
	.globl	_ZL16k_get_rows_floatI6__halffEvPKT_PKiPT0_ll15HIP_vector_typeIjLj3EEmmmmmmmmm ; -- Begin function _ZL16k_get_rows_floatI6__halffEvPKT_PKiPT0_ll15HIP_vector_typeIjLj3EEmmmmmmmmm
	.p2align	8
	.type	_ZL16k_get_rows_floatI6__halffEvPKT_PKiPT0_ll15HIP_vector_typeIjLj3EEmmmmmmmmm,@function
_ZL16k_get_rows_floatI6__halffEvPKT_PKiPT0_ll15HIP_vector_typeIjLj3EEmmmmmmmmm: ; @_ZL16k_get_rows_floatI6__halffEvPKT_PKiPT0_ll15HIP_vector_typeIjLj3EEmmmmmmmmm
; %bb.0:
	s_load_dwordx2 s[0:1], s[4:5], 0x20
	s_load_dwordx2 s[2:3], s[4:5], 0x2c
	s_mov_b32 s9, 0
	v_mov_b32_e32 v1, s8
	v_mov_b32_e32 v2, s9
	s_waitcnt lgkmcnt(0)
	s_mul_i32 s1, s1, s3
	s_mul_hi_u32 s10, s0, s3
	s_add_i32 s31, s10, s1
	s_mul_i32 s30, s0, s3
	v_cmp_le_i64_e32 vcc, s[30:31], v[1:2]
	s_cbranch_vccnz .LBB0_6
; %bb.1:
	s_load_dwordx8 s[36:43], s[4:5], 0x0
	s_load_dwordx2 s[10:11], s[4:5], 0x78
	s_load_dwordx2 s[28:29], s[4:5], 0x88
	s_load_dword s33, s[4:5], 0x28
	s_load_dwordx16 s[12:27], s[4:5], 0x38
	s_add_u32 s4, s4, 0x80
	s_addc_u32 s5, s5, 0
	s_waitcnt lgkmcnt(0)
	s_and_b32 s29, s29, 0xffff
	s_mul_i32 s7, s7, s29
	v_add_u32_e32 v0, s7, v0
	s_ashr_i32 s7, s6, 31
	s_mul_hi_u32 s34, s24, s6
	s_mul_i32 s35, s24, s7
	s_add_i32 s34, s34, s35
	s_mul_i32 s25, s25, s6
	s_add_i32 s25, s34, s25
	s_mul_i32 s24, s24, s6
	s_lshl_b64 s[24:25], s[24:25], 2
	s_add_u32 s38, s38, s24
	s_mul_hi_u32 s24, s12, s6
	s_mul_i32 s7, s12, s7
	s_addc_u32 s39, s39, s25
	s_add_i32 s7, s24, s7
	s_mul_i32 s13, s13, s6
	s_add_i32 s7, s7, s13
	s_mul_i32 s6, s12, s6
	v_mov_b32_e32 v1, 0
	s_lshl_b64 s[6:7], s[6:7], 2
	v_lshlrev_b64 v[2:3], 2, v[0:1]
	s_add_u32 s6, s40, s6
	s_addc_u32 s7, s41, s7
	v_mov_b32_e32 v4, s7
	v_add_co_u32_e32 v10, vcc, s6, v2
	v_addc_co_u32_e32 v11, vcc, v4, v3, vcc
	v_lshlrev_b64 v[2:3], 1, v[0:1]
	v_mov_b32_e32 v4, s37
	v_add_co_u32_e32 v12, vcc, s36, v2
	v_cmp_gt_i64_e64 s[0:1], s[42:43], v[0:1]
	v_addc_co_u32_e32 v13, vcc, v4, v3, vcc
	v_mov_b32_e32 v2, s30
	s_lshl_b64 s[6:7], s[14:15], 2
	s_lshl_b64 s[12:13], s[16:17], 2
	v_mov_b32_e32 v3, s31
	s_mov_b64 s[14:15], s[8:9]
	s_branch .LBB0_3
.LBB0_2:                                ;   in Loop: Header=BB0_3 Depth=1
	s_or_b64 exec, exec, s[16:17]
	s_add_u32 s14, s14, s28
	s_addc_u32 s15, s15, 0
	v_cmp_lt_i64_e32 vcc, s[14:15], v[2:3]
	s_cbranch_vccz .LBB0_6
.LBB0_3:                                ; =>This Loop Header: Depth=1
                                        ;     Child Loop BB0_5 Depth 2
	s_and_saveexec_b64 s[16:17], s[0:1]
	s_cbranch_execz .LBB0_2
; %bb.4:                                ;   in Loop: Header=BB0_3 Depth=1
	s_mul_hi_u32 s8, s14, s33
	s_add_i32 s8, s8, s14
	s_lshr_b32 s34, s8, s2
	s_mul_i32 s8, s34, s3
	s_ashr_i32 s36, s34, 31
	s_sub_i32 s35, s14, s8
	s_mul_i32 s8, s26, s36
	s_mul_hi_u32 s24, s26, s34
	s_add_i32 s8, s24, s8
	s_mul_i32 s24, s27, s34
	s_ashr_i32 s37, s35, 31
	s_add_i32 s25, s8, s24
	s_mul_i32 s8, s10, s37
	s_mul_hi_u32 s30, s10, s35
	s_mul_i32 s24, s26, s34
	s_add_i32 s8, s30, s8
	s_mul_i32 s30, s11, s35
	s_add_i32 s31, s8, s30
	s_lshl_b64 s[24:25], s[24:25], 2
	s_mul_i32 s30, s10, s35
	s_add_u32 s8, s38, s24
	s_addc_u32 s40, s39, s25
	s_lshl_b64 s[24:25], s[30:31], 2
	s_add_u32 s24, s8, s24
	s_addc_u32 s25, s40, s25
	s_load_dword s8, s[24:25], 0x0
	s_mul_i32 s41, s20, s34
	v_mov_b32_e32 v9, v1
	v_mov_b32_e32 v8, v0
	s_waitcnt lgkmcnt(0)
	s_ashr_i32 s24, s8, 31
	s_mul_i32 s24, s18, s24
	s_mul_hi_u32 s25, s18, s8
	s_add_i32 s24, s25, s24
	s_mul_i32 s25, s19, s8
	s_add_i32 s30, s24, s25
	s_load_dword s25, s[4:5], 0x4
	s_mul_i32 s31, s18, s8
	s_mul_i32 s8, s20, s36
	s_mul_hi_u32 s24, s20, s34
	s_add_i32 s8, s24, s8
	s_mul_i32 s24, s21, s34
	s_add_i32 s40, s8, s24
	s_waitcnt lgkmcnt(0)
	s_mul_i32 s8, s25, s29
	s_mul_i32 s24, s6, s36
	s_mul_hi_u32 s25, s6, s34
	s_add_i32 s24, s25, s24
	s_mul_i32 s25, s7, s34
	s_add_i32 s24, s24, s25
	s_mul_i32 s25, s6, s34
	s_mul_i32 s34, s12, s37
	s_mul_hi_u32 s36, s12, s35
	s_add_i32 s34, s36, s34
	s_mul_i32 s36, s13, s35
	s_add_i32 s34, s34, s36
	s_mul_i32 s36, s12, s35
	s_add_u32 s25, s25, s36
	s_addc_u32 s24, s24, s34
	v_mov_b32_e32 v5, s24
	v_add_co_u32_e32 v4, vcc, s25, v10
	s_lshl_b64 s[24:25], s[8:9], 2
	s_add_u32 s31, s41, s31
	s_mul_i32 s34, s22, s37
	s_mul_hi_u32 s36, s22, s35
	s_addc_u32 s30, s40, s30
	s_add_i32 s34, s36, s34
	s_mul_i32 s36, s23, s35
	s_add_i32 s34, s34, s36
	s_mul_i32 s35, s22, s35
	s_add_u32 s31, s31, s35
	v_addc_co_u32_e32 v5, vcc, v11, v5, vcc
	s_addc_u32 s30, s30, s34
	v_mov_b32_e32 v7, s30
	v_add_co_u32_e32 v6, vcc, s31, v12
	s_lshl_b64 s[30:31], s[8:9], 1
	v_addc_co_u32_e32 v7, vcc, v13, v7, vcc
	s_mov_b64 s[34:35], 0
	v_mov_b32_e32 v14, s25
	v_mov_b32_e32 v15, s31
.LBB0_5:                                ;   Parent Loop BB0_3 Depth=1
                                        ; =>  This Inner Loop Header: Depth=2
	global_load_ushort v16, v[6:7], off
	v_add_co_u32_e32 v8, vcc, s8, v8
	v_addc_co_u32_e32 v9, vcc, 0, v9, vcc
	v_add_co_u32_e32 v6, vcc, s30, v6
	v_addc_co_u32_e32 v7, vcc, v7, v15, vcc
	v_cmp_le_i64_e32 vcc, s[42:43], v[8:9]
	s_or_b64 s[34:35], vcc, s[34:35]
	s_waitcnt vmcnt(0)
	v_cvt_f32_f16_e32 v16, v16
	global_store_dword v[4:5], v16, off
	v_add_co_u32_e32 v4, vcc, s24, v4
	v_addc_co_u32_e32 v5, vcc, v5, v14, vcc
	s_andn2_b64 exec, exec, s[34:35]
	s_cbranch_execnz .LBB0_5
	s_branch .LBB0_2
.LBB0_6:
	s_endpgm
	.section	.rodata,"a",@progbits
	.p2align	6, 0x0
	.amdhsa_kernel _ZL16k_get_rows_floatI6__halffEvPKT_PKiPT0_ll15HIP_vector_typeIjLj3EEmmmmmmmmm
		.amdhsa_group_segment_fixed_size 0
		.amdhsa_private_segment_fixed_size 0
		.amdhsa_kernarg_size 384
		.amdhsa_user_sgpr_count 6
		.amdhsa_user_sgpr_private_segment_buffer 1
		.amdhsa_user_sgpr_dispatch_ptr 0
		.amdhsa_user_sgpr_queue_ptr 0
		.amdhsa_user_sgpr_kernarg_segment_ptr 1
		.amdhsa_user_sgpr_dispatch_id 0
		.amdhsa_user_sgpr_flat_scratch_init 0
		.amdhsa_user_sgpr_private_segment_size 0
		.amdhsa_uses_dynamic_stack 0
		.amdhsa_system_sgpr_private_segment_wavefront_offset 0
		.amdhsa_system_sgpr_workgroup_id_x 1
		.amdhsa_system_sgpr_workgroup_id_y 1
		.amdhsa_system_sgpr_workgroup_id_z 1
		.amdhsa_system_sgpr_workgroup_info 0
		.amdhsa_system_vgpr_workitem_id 0
		.amdhsa_next_free_vgpr 17
		.amdhsa_next_free_sgpr 44
		.amdhsa_reserve_vcc 1
		.amdhsa_reserve_flat_scratch 0
		.amdhsa_float_round_mode_32 0
		.amdhsa_float_round_mode_16_64 0
		.amdhsa_float_denorm_mode_32 3
		.amdhsa_float_denorm_mode_16_64 3
		.amdhsa_dx10_clamp 1
		.amdhsa_ieee_mode 1
		.amdhsa_fp16_overflow 0
		.amdhsa_exception_fp_ieee_invalid_op 0
		.amdhsa_exception_fp_denorm_src 0
		.amdhsa_exception_fp_ieee_div_zero 0
		.amdhsa_exception_fp_ieee_overflow 0
		.amdhsa_exception_fp_ieee_underflow 0
		.amdhsa_exception_fp_ieee_inexact 0
		.amdhsa_exception_int_div_zero 0
	.end_amdhsa_kernel
	.section	.text._ZL16k_get_rows_floatI6__halffEvPKT_PKiPT0_ll15HIP_vector_typeIjLj3EEmmmmmmmmm,"axG",@progbits,_ZL16k_get_rows_floatI6__halffEvPKT_PKiPT0_ll15HIP_vector_typeIjLj3EEmmmmmmmmm,comdat
.Lfunc_end0:
	.size	_ZL16k_get_rows_floatI6__halffEvPKT_PKiPT0_ll15HIP_vector_typeIjLj3EEmmmmmmmmm, .Lfunc_end0-_ZL16k_get_rows_floatI6__halffEvPKT_PKiPT0_ll15HIP_vector_typeIjLj3EEmmmmmmmmm
                                        ; -- End function
	.set _ZL16k_get_rows_floatI6__halffEvPKT_PKiPT0_ll15HIP_vector_typeIjLj3EEmmmmmmmmm.num_vgpr, 17
	.set _ZL16k_get_rows_floatI6__halffEvPKT_PKiPT0_ll15HIP_vector_typeIjLj3EEmmmmmmmmm.num_agpr, 0
	.set _ZL16k_get_rows_floatI6__halffEvPKT_PKiPT0_ll15HIP_vector_typeIjLj3EEmmmmmmmmm.numbered_sgpr, 44
	.set _ZL16k_get_rows_floatI6__halffEvPKT_PKiPT0_ll15HIP_vector_typeIjLj3EEmmmmmmmmm.num_named_barrier, 0
	.set _ZL16k_get_rows_floatI6__halffEvPKT_PKiPT0_ll15HIP_vector_typeIjLj3EEmmmmmmmmm.private_seg_size, 0
	.set _ZL16k_get_rows_floatI6__halffEvPKT_PKiPT0_ll15HIP_vector_typeIjLj3EEmmmmmmmmm.uses_vcc, 1
	.set _ZL16k_get_rows_floatI6__halffEvPKT_PKiPT0_ll15HIP_vector_typeIjLj3EEmmmmmmmmm.uses_flat_scratch, 0
	.set _ZL16k_get_rows_floatI6__halffEvPKT_PKiPT0_ll15HIP_vector_typeIjLj3EEmmmmmmmmm.has_dyn_sized_stack, 0
	.set _ZL16k_get_rows_floatI6__halffEvPKT_PKiPT0_ll15HIP_vector_typeIjLj3EEmmmmmmmmm.has_recursion, 0
	.set _ZL16k_get_rows_floatI6__halffEvPKT_PKiPT0_ll15HIP_vector_typeIjLj3EEmmmmmmmmm.has_indirect_call, 0
	.section	.AMDGPU.csdata,"",@progbits
; Kernel info:
; codeLenInByte = 708
; TotalNumSgprs: 48
; NumVgprs: 17
; ScratchSize: 0
; MemoryBound: 0
; FloatMode: 240
; IeeeMode: 1
; LDSByteSize: 0 bytes/workgroup (compile time only)
; SGPRBlocks: 5
; VGPRBlocks: 4
; NumSGPRsForWavesPerEU: 48
; NumVGPRsForWavesPerEU: 17
; Occupancy: 10
; WaveLimiterHint : 1
; COMPUTE_PGM_RSRC2:SCRATCH_EN: 0
; COMPUTE_PGM_RSRC2:USER_SGPR: 6
; COMPUTE_PGM_RSRC2:TRAP_HANDLER: 0
; COMPUTE_PGM_RSRC2:TGID_X_EN: 1
; COMPUTE_PGM_RSRC2:TGID_Y_EN: 1
; COMPUTE_PGM_RSRC2:TGID_Z_EN: 1
; COMPUTE_PGM_RSRC2:TIDIG_COMP_CNT: 0
	.section	.text._ZL16k_get_rows_floatIffEvPKT_PKiPT0_ll15HIP_vector_typeIjLj3EEmmmmmmmmm,"axG",@progbits,_ZL16k_get_rows_floatIffEvPKT_PKiPT0_ll15HIP_vector_typeIjLj3EEmmmmmmmmm,comdat
	.globl	_ZL16k_get_rows_floatIffEvPKT_PKiPT0_ll15HIP_vector_typeIjLj3EEmmmmmmmmm ; -- Begin function _ZL16k_get_rows_floatIffEvPKT_PKiPT0_ll15HIP_vector_typeIjLj3EEmmmmmmmmm
	.p2align	8
	.type	_ZL16k_get_rows_floatIffEvPKT_PKiPT0_ll15HIP_vector_typeIjLj3EEmmmmmmmmm,@function
_ZL16k_get_rows_floatIffEvPKT_PKiPT0_ll15HIP_vector_typeIjLj3EEmmmmmmmmm: ; @_ZL16k_get_rows_floatIffEvPKT_PKiPT0_ll15HIP_vector_typeIjLj3EEmmmmmmmmm
; %bb.0:
	s_load_dwordx2 s[0:1], s[4:5], 0x20
	s_load_dwordx2 s[10:11], s[4:5], 0x2c
	s_mov_b32 s9, 0
	v_mov_b32_e32 v1, s8
	v_mov_b32_e32 v2, s9
	s_waitcnt lgkmcnt(0)
	s_mul_i32 s1, s1, s11
	s_mul_hi_u32 s2, s0, s11
	s_add_i32 s3, s2, s1
	s_mul_i32 s2, s0, s11
	v_cmp_le_i64_e32 vcc, s[2:3], v[1:2]
	s_cbranch_vccnz .LBB1_6
; %bb.1:
	s_load_dwordx8 s[36:43], s[4:5], 0x0
	s_load_dwordx2 s[28:29], s[4:5], 0x78
	s_load_dwordx2 s[30:31], s[4:5], 0x88
	s_load_dword s33, s[4:5], 0x28
	s_load_dwordx16 s[12:27], s[4:5], 0x38
	s_add_u32 s4, s4, 0x80
	s_addc_u32 s5, s5, 0
	s_waitcnt lgkmcnt(0)
	s_and_b32 s31, s31, 0xffff
	s_mul_i32 s7, s7, s31
	v_add_u32_e32 v0, s7, v0
	s_ashr_i32 s7, s6, 31
	s_mul_hi_u32 s34, s24, s6
	s_mul_i32 s35, s24, s7
	s_add_i32 s34, s34, s35
	s_mul_i32 s25, s25, s6
	s_add_i32 s25, s34, s25
	s_mul_i32 s24, s24, s6
	s_lshl_b64 s[24:25], s[24:25], 2
	s_add_u32 s38, s38, s24
	s_mul_hi_u32 s24, s12, s6
	s_mul_i32 s7, s12, s7
	s_addc_u32 s39, s39, s25
	s_add_i32 s7, s24, s7
	s_mul_i32 s13, s13, s6
	s_add_i32 s7, s7, s13
	s_mul_i32 s6, s12, s6
	v_mov_b32_e32 v1, 0
	s_lshl_b64 s[6:7], s[6:7], 2
	v_lshlrev_b64 v[2:3], 2, v[0:1]
	s_add_u32 s6, s40, s6
	s_addc_u32 s7, s41, s7
	v_mov_b32_e32 v4, s7
	v_add_co_u32_e32 v6, vcc, s6, v2
	v_addc_co_u32_e32 v7, vcc, v4, v3, vcc
	v_mov_b32_e32 v4, s37
	v_add_co_u32_e32 v8, vcc, s36, v2
	v_cmp_gt_i64_e64 s[0:1], s[42:43], v[0:1]
	v_addc_co_u32_e32 v9, vcc, v4, v3, vcc
	v_mov_b32_e32 v2, s2
	s_lshl_b64 s[6:7], s[14:15], 2
	s_lshl_b64 s[12:13], s[16:17], 2
	v_mov_b32_e32 v3, s3
	s_mov_b64 s[14:15], s[8:9]
	s_branch .LBB1_3
.LBB1_2:                                ;   in Loop: Header=BB1_3 Depth=1
	s_or_b64 exec, exec, s[16:17]
	s_add_u32 s14, s14, s30
	s_addc_u32 s15, s15, 0
	v_cmp_lt_i64_e32 vcc, s[14:15], v[2:3]
	s_cbranch_vccz .LBB1_6
.LBB1_3:                                ; =>This Loop Header: Depth=1
                                        ;     Child Loop BB1_5 Depth 2
	s_and_saveexec_b64 s[16:17], s[0:1]
	s_cbranch_execz .LBB1_2
; %bb.4:                                ;   in Loop: Header=BB1_3 Depth=1
	s_mul_hi_u32 s2, s14, s33
	s_add_i32 s2, s2, s14
	s_lshr_b32 s34, s2, s10
	s_mul_i32 s2, s34, s11
	s_sub_i32 s35, s14, s2
	s_ashr_i32 s36, s34, 31
	s_mul_i32 s2, s26, s36
	s_mul_hi_u32 s3, s26, s34
	s_ashr_i32 s37, s35, 31
	s_add_i32 s2, s3, s2
	s_mul_i32 s3, s27, s34
	s_mul_i32 s8, s28, s37
	s_mul_hi_u32 s24, s28, s35
	s_add_i32 s3, s2, s3
	s_mul_i32 s2, s26, s34
	s_add_i32 s8, s24, s8
	s_mul_i32 s24, s29, s35
	s_add_i32 s25, s8, s24
	s_lshl_b64 s[2:3], s[2:3], 2
	s_mul_i32 s24, s28, s35
	s_add_u32 s8, s38, s2
	s_addc_u32 s40, s39, s3
	s_lshl_b64 s[2:3], s[24:25], 2
	s_add_u32 s2, s8, s2
	s_addc_u32 s3, s40, s3
	s_load_dword s2, s[2:3], 0x0
	s_mul_hi_u32 s24, s20, s34
	s_load_dword s25, s[4:5], 0x4
	s_mul_i32 s41, s20, s34
	s_waitcnt lgkmcnt(0)
	s_ashr_i32 s3, s2, 31
	s_mul_i32 s3, s18, s3
	s_mul_hi_u32 s8, s18, s2
	s_add_i32 s3, s8, s3
	s_mul_i32 s8, s19, s2
	s_add_i32 s3, s3, s8
	s_mul_i32 s8, s20, s36
	;; [unrolled: 2-line block ×4, first 2 shown]
	s_mul_i32 s24, s6, s36
	s_mul_hi_u32 s25, s6, s34
	s_add_i32 s24, s25, s24
	s_mul_i32 s25, s7, s34
	s_add_i32 s24, s24, s25
	s_mul_i32 s25, s6, s34
	s_mul_i32 s34, s12, s37
	s_mul_hi_u32 s36, s12, s35
	s_add_i32 s34, s36, s34
	s_mul_i32 s36, s13, s35
	s_add_i32 s34, s34, s36
	s_mul_i32 s36, s12, s35
	s_add_u32 s25, s25, s36
	s_addc_u32 s24, s24, s34
	s_mul_i32 s2, s18, s2
	v_mov_b32_e32 v4, s24
	v_add_co_u32_e32 v10, vcc, s25, v6
	s_lshl_b64 s[24:25], s[8:9], 2
	s_add_u32 s2, s41, s2
	s_mul_i32 s34, s22, s37
	s_mul_hi_u32 s36, s22, s35
	s_addc_u32 s3, s40, s3
	s_add_i32 s34, s36, s34
	s_mul_i32 s36, s23, s35
	s_add_i32 s34, s34, s36
	s_mul_i32 s35, s22, s35
	s_add_u32 s2, s2, s35
	v_addc_co_u32_e32 v11, vcc, v7, v4, vcc
	s_addc_u32 s3, s3, s34
	v_mov_b32_e32 v4, s3
	v_add_co_u32_e32 v12, vcc, s2, v8
	v_addc_co_u32_e32 v13, vcc, v9, v4, vcc
	v_mov_b32_e32 v5, v1
	s_mov_b64 s[34:35], 0
	s_mov_b64 s[36:37], 0
	v_mov_b32_e32 v4, v0
.LBB1_5:                                ;   Parent Loop BB1_3 Depth=1
                                        ; =>  This Inner Loop Header: Depth=2
	v_mov_b32_e32 v16, s37
	v_add_co_u32_e32 v14, vcc, s36, v12
	v_addc_co_u32_e32 v15, vcc, v13, v16, vcc
	global_load_dword v17, v[14:15], off
	v_add_co_u32_e32 v14, vcc, s36, v10
	v_add_co_u32_e64 v4, s[2:3], s8, v4
	v_addc_co_u32_e64 v5, s[2:3], 0, v5, s[2:3]
	v_addc_co_u32_e32 v15, vcc, v11, v16, vcc
	s_add_u32 s36, s36, s24
	v_cmp_le_i64_e32 vcc, s[42:43], v[4:5]
	s_addc_u32 s37, s37, s25
	s_or_b64 s[34:35], vcc, s[34:35]
	s_waitcnt vmcnt(0)
	global_store_dword v[14:15], v17, off
	s_andn2_b64 exec, exec, s[34:35]
	s_cbranch_execnz .LBB1_5
	s_branch .LBB1_2
.LBB1_6:
	s_endpgm
	.section	.rodata,"a",@progbits
	.p2align	6, 0x0
	.amdhsa_kernel _ZL16k_get_rows_floatIffEvPKT_PKiPT0_ll15HIP_vector_typeIjLj3EEmmmmmmmmm
		.amdhsa_group_segment_fixed_size 0
		.amdhsa_private_segment_fixed_size 0
		.amdhsa_kernarg_size 384
		.amdhsa_user_sgpr_count 6
		.amdhsa_user_sgpr_private_segment_buffer 1
		.amdhsa_user_sgpr_dispatch_ptr 0
		.amdhsa_user_sgpr_queue_ptr 0
		.amdhsa_user_sgpr_kernarg_segment_ptr 1
		.amdhsa_user_sgpr_dispatch_id 0
		.amdhsa_user_sgpr_flat_scratch_init 0
		.amdhsa_user_sgpr_private_segment_size 0
		.amdhsa_uses_dynamic_stack 0
		.amdhsa_system_sgpr_private_segment_wavefront_offset 0
		.amdhsa_system_sgpr_workgroup_id_x 1
		.amdhsa_system_sgpr_workgroup_id_y 1
		.amdhsa_system_sgpr_workgroup_id_z 1
		.amdhsa_system_sgpr_workgroup_info 0
		.amdhsa_system_vgpr_workitem_id 0
		.amdhsa_next_free_vgpr 18
		.amdhsa_next_free_sgpr 44
		.amdhsa_reserve_vcc 1
		.amdhsa_reserve_flat_scratch 0
		.amdhsa_float_round_mode_32 0
		.amdhsa_float_round_mode_16_64 0
		.amdhsa_float_denorm_mode_32 3
		.amdhsa_float_denorm_mode_16_64 3
		.amdhsa_dx10_clamp 1
		.amdhsa_ieee_mode 1
		.amdhsa_fp16_overflow 0
		.amdhsa_exception_fp_ieee_invalid_op 0
		.amdhsa_exception_fp_denorm_src 0
		.amdhsa_exception_fp_ieee_div_zero 0
		.amdhsa_exception_fp_ieee_overflow 0
		.amdhsa_exception_fp_ieee_underflow 0
		.amdhsa_exception_fp_ieee_inexact 0
		.amdhsa_exception_int_div_zero 0
	.end_amdhsa_kernel
	.section	.text._ZL16k_get_rows_floatIffEvPKT_PKiPT0_ll15HIP_vector_typeIjLj3EEmmmmmmmmm,"axG",@progbits,_ZL16k_get_rows_floatIffEvPKT_PKiPT0_ll15HIP_vector_typeIjLj3EEmmmmmmmmm,comdat
.Lfunc_end1:
	.size	_ZL16k_get_rows_floatIffEvPKT_PKiPT0_ll15HIP_vector_typeIjLj3EEmmmmmmmmm, .Lfunc_end1-_ZL16k_get_rows_floatIffEvPKT_PKiPT0_ll15HIP_vector_typeIjLj3EEmmmmmmmmm
                                        ; -- End function
	.set _ZL16k_get_rows_floatIffEvPKT_PKiPT0_ll15HIP_vector_typeIjLj3EEmmmmmmmmm.num_vgpr, 18
	.set _ZL16k_get_rows_floatIffEvPKT_PKiPT0_ll15HIP_vector_typeIjLj3EEmmmmmmmmm.num_agpr, 0
	.set _ZL16k_get_rows_floatIffEvPKT_PKiPT0_ll15HIP_vector_typeIjLj3EEmmmmmmmmm.numbered_sgpr, 44
	.set _ZL16k_get_rows_floatIffEvPKT_PKiPT0_ll15HIP_vector_typeIjLj3EEmmmmmmmmm.num_named_barrier, 0
	.set _ZL16k_get_rows_floatIffEvPKT_PKiPT0_ll15HIP_vector_typeIjLj3EEmmmmmmmmm.private_seg_size, 0
	.set _ZL16k_get_rows_floatIffEvPKT_PKiPT0_ll15HIP_vector_typeIjLj3EEmmmmmmmmm.uses_vcc, 1
	.set _ZL16k_get_rows_floatIffEvPKT_PKiPT0_ll15HIP_vector_typeIjLj3EEmmmmmmmmm.uses_flat_scratch, 0
	.set _ZL16k_get_rows_floatIffEvPKT_PKiPT0_ll15HIP_vector_typeIjLj3EEmmmmmmmmm.has_dyn_sized_stack, 0
	.set _ZL16k_get_rows_floatIffEvPKT_PKiPT0_ll15HIP_vector_typeIjLj3EEmmmmmmmmm.has_recursion, 0
	.set _ZL16k_get_rows_floatIffEvPKT_PKiPT0_ll15HIP_vector_typeIjLj3EEmmmmmmmmm.has_indirect_call, 0
	.section	.AMDGPU.csdata,"",@progbits
; Kernel info:
; codeLenInByte = 704
; TotalNumSgprs: 48
; NumVgprs: 18
; ScratchSize: 0
; MemoryBound: 0
; FloatMode: 240
; IeeeMode: 1
; LDSByteSize: 0 bytes/workgroup (compile time only)
; SGPRBlocks: 5
; VGPRBlocks: 4
; NumSGPRsForWavesPerEU: 48
; NumVGPRsForWavesPerEU: 18
; Occupancy: 10
; WaveLimiterHint : 1
; COMPUTE_PGM_RSRC2:SCRATCH_EN: 0
; COMPUTE_PGM_RSRC2:USER_SGPR: 6
; COMPUTE_PGM_RSRC2:TRAP_HANDLER: 0
; COMPUTE_PGM_RSRC2:TGID_X_EN: 1
; COMPUTE_PGM_RSRC2:TGID_Y_EN: 1
; COMPUTE_PGM_RSRC2:TGID_Z_EN: 1
; COMPUTE_PGM_RSRC2:TIDIG_COMP_CNT: 0
	.section	.text._ZL16k_get_rows_floatIifEvPKT_PKiPT0_ll15HIP_vector_typeIjLj3EEmmmmmmmmm,"axG",@progbits,_ZL16k_get_rows_floatIifEvPKT_PKiPT0_ll15HIP_vector_typeIjLj3EEmmmmmmmmm,comdat
	.globl	_ZL16k_get_rows_floatIifEvPKT_PKiPT0_ll15HIP_vector_typeIjLj3EEmmmmmmmmm ; -- Begin function _ZL16k_get_rows_floatIifEvPKT_PKiPT0_ll15HIP_vector_typeIjLj3EEmmmmmmmmm
	.p2align	8
	.type	_ZL16k_get_rows_floatIifEvPKT_PKiPT0_ll15HIP_vector_typeIjLj3EEmmmmmmmmm,@function
_ZL16k_get_rows_floatIifEvPKT_PKiPT0_ll15HIP_vector_typeIjLj3EEmmmmmmmmm: ; @_ZL16k_get_rows_floatIifEvPKT_PKiPT0_ll15HIP_vector_typeIjLj3EEmmmmmmmmm
; %bb.0:
	s_load_dwordx2 s[0:1], s[4:5], 0x20
	s_load_dwordx2 s[10:11], s[4:5], 0x2c
	s_mov_b32 s9, 0
	v_mov_b32_e32 v1, s8
	v_mov_b32_e32 v2, s9
	s_waitcnt lgkmcnt(0)
	s_mul_i32 s1, s1, s11
	s_mul_hi_u32 s2, s0, s11
	s_add_i32 s3, s2, s1
	s_mul_i32 s2, s0, s11
	v_cmp_le_i64_e32 vcc, s[2:3], v[1:2]
	s_cbranch_vccnz .LBB2_6
; %bb.1:
	s_load_dwordx8 s[36:43], s[4:5], 0x0
	s_load_dwordx2 s[28:29], s[4:5], 0x78
	s_load_dwordx2 s[30:31], s[4:5], 0x88
	s_load_dword s33, s[4:5], 0x28
	s_load_dwordx16 s[12:27], s[4:5], 0x38
	s_add_u32 s4, s4, 0x80
	s_addc_u32 s5, s5, 0
	s_waitcnt lgkmcnt(0)
	s_and_b32 s31, s31, 0xffff
	s_mul_i32 s7, s7, s31
	v_add_u32_e32 v0, s7, v0
	s_ashr_i32 s7, s6, 31
	s_mul_hi_u32 s34, s24, s6
	s_mul_i32 s35, s24, s7
	s_add_i32 s34, s34, s35
	s_mul_i32 s25, s25, s6
	s_add_i32 s25, s34, s25
	s_mul_i32 s24, s24, s6
	s_lshl_b64 s[24:25], s[24:25], 2
	s_add_u32 s38, s38, s24
	s_mul_hi_u32 s24, s12, s6
	s_mul_i32 s7, s12, s7
	s_addc_u32 s39, s39, s25
	s_add_i32 s7, s24, s7
	s_mul_i32 s13, s13, s6
	s_add_i32 s7, s7, s13
	s_mul_i32 s6, s12, s6
	v_mov_b32_e32 v1, 0
	s_lshl_b64 s[6:7], s[6:7], 2
	v_lshlrev_b64 v[2:3], 2, v[0:1]
	s_add_u32 s6, s40, s6
	s_addc_u32 s7, s41, s7
	v_mov_b32_e32 v4, s7
	v_add_co_u32_e32 v6, vcc, s6, v2
	v_addc_co_u32_e32 v7, vcc, v4, v3, vcc
	v_mov_b32_e32 v4, s37
	v_add_co_u32_e32 v8, vcc, s36, v2
	v_cmp_gt_i64_e64 s[0:1], s[42:43], v[0:1]
	v_addc_co_u32_e32 v9, vcc, v4, v3, vcc
	v_mov_b32_e32 v2, s2
	s_lshl_b64 s[6:7], s[14:15], 2
	s_lshl_b64 s[12:13], s[16:17], 2
	v_mov_b32_e32 v3, s3
	s_mov_b64 s[14:15], s[8:9]
	s_branch .LBB2_3
.LBB2_2:                                ;   in Loop: Header=BB2_3 Depth=1
	s_or_b64 exec, exec, s[16:17]
	s_add_u32 s14, s14, s30
	s_addc_u32 s15, s15, 0
	v_cmp_lt_i64_e32 vcc, s[14:15], v[2:3]
	s_cbranch_vccz .LBB2_6
.LBB2_3:                                ; =>This Loop Header: Depth=1
                                        ;     Child Loop BB2_5 Depth 2
	s_and_saveexec_b64 s[16:17], s[0:1]
	s_cbranch_execz .LBB2_2
; %bb.4:                                ;   in Loop: Header=BB2_3 Depth=1
	s_mul_hi_u32 s2, s14, s33
	s_add_i32 s2, s2, s14
	s_lshr_b32 s34, s2, s10
	s_mul_i32 s2, s34, s11
	s_sub_i32 s35, s14, s2
	s_ashr_i32 s36, s34, 31
	s_mul_i32 s2, s26, s36
	s_mul_hi_u32 s3, s26, s34
	s_ashr_i32 s37, s35, 31
	s_add_i32 s2, s3, s2
	s_mul_i32 s3, s27, s34
	s_mul_i32 s8, s28, s37
	s_mul_hi_u32 s24, s28, s35
	s_add_i32 s3, s2, s3
	s_mul_i32 s2, s26, s34
	s_add_i32 s8, s24, s8
	s_mul_i32 s24, s29, s35
	s_add_i32 s25, s8, s24
	s_lshl_b64 s[2:3], s[2:3], 2
	s_mul_i32 s24, s28, s35
	s_add_u32 s8, s38, s2
	s_addc_u32 s40, s39, s3
	s_lshl_b64 s[2:3], s[24:25], 2
	s_add_u32 s2, s8, s2
	s_addc_u32 s3, s40, s3
	s_load_dword s2, s[2:3], 0x0
	s_mul_hi_u32 s24, s20, s34
	s_load_dword s25, s[4:5], 0x4
	s_mul_i32 s41, s20, s34
	s_waitcnt lgkmcnt(0)
	s_ashr_i32 s3, s2, 31
	s_mul_i32 s3, s18, s3
	s_mul_hi_u32 s8, s18, s2
	s_add_i32 s3, s8, s3
	s_mul_i32 s8, s19, s2
	s_add_i32 s3, s3, s8
	s_mul_i32 s8, s20, s36
	;; [unrolled: 2-line block ×4, first 2 shown]
	s_mul_i32 s24, s6, s36
	s_mul_hi_u32 s25, s6, s34
	s_add_i32 s24, s25, s24
	s_mul_i32 s25, s7, s34
	s_add_i32 s24, s24, s25
	s_mul_i32 s25, s6, s34
	s_mul_i32 s34, s12, s37
	s_mul_hi_u32 s36, s12, s35
	s_add_i32 s34, s36, s34
	s_mul_i32 s36, s13, s35
	s_add_i32 s34, s34, s36
	s_mul_i32 s36, s12, s35
	s_add_u32 s25, s25, s36
	s_addc_u32 s24, s24, s34
	s_mul_i32 s2, s18, s2
	v_mov_b32_e32 v4, s24
	v_add_co_u32_e32 v10, vcc, s25, v6
	s_lshl_b64 s[24:25], s[8:9], 2
	s_add_u32 s2, s41, s2
	s_mul_i32 s34, s22, s37
	s_mul_hi_u32 s36, s22, s35
	s_addc_u32 s3, s40, s3
	s_add_i32 s34, s36, s34
	s_mul_i32 s36, s23, s35
	s_add_i32 s34, s34, s36
	s_mul_i32 s35, s22, s35
	s_add_u32 s2, s2, s35
	v_addc_co_u32_e32 v11, vcc, v7, v4, vcc
	s_addc_u32 s3, s3, s34
	v_mov_b32_e32 v4, s3
	v_add_co_u32_e32 v12, vcc, s2, v8
	v_addc_co_u32_e32 v13, vcc, v9, v4, vcc
	v_mov_b32_e32 v5, v1
	s_mov_b64 s[34:35], 0
	s_mov_b64 s[36:37], 0
	v_mov_b32_e32 v4, v0
.LBB2_5:                                ;   Parent Loop BB2_3 Depth=1
                                        ; =>  This Inner Loop Header: Depth=2
	v_mov_b32_e32 v16, s37
	v_add_co_u32_e32 v14, vcc, s36, v12
	v_addc_co_u32_e32 v15, vcc, v13, v16, vcc
	global_load_dword v17, v[14:15], off
	v_add_co_u32_e32 v14, vcc, s36, v10
	v_add_co_u32_e64 v4, s[2:3], s8, v4
	v_addc_co_u32_e64 v5, s[2:3], 0, v5, s[2:3]
	v_addc_co_u32_e32 v15, vcc, v11, v16, vcc
	s_add_u32 s36, s36, s24
	v_cmp_le_i64_e32 vcc, s[42:43], v[4:5]
	s_addc_u32 s37, s37, s25
	s_or_b64 s[34:35], vcc, s[34:35]
	s_waitcnt vmcnt(0)
	v_cvt_f32_i32_e32 v16, v17
	global_store_dword v[14:15], v16, off
	s_andn2_b64 exec, exec, s[34:35]
	s_cbranch_execnz .LBB2_5
	s_branch .LBB2_2
.LBB2_6:
	s_endpgm
	.section	.rodata,"a",@progbits
	.p2align	6, 0x0
	.amdhsa_kernel _ZL16k_get_rows_floatIifEvPKT_PKiPT0_ll15HIP_vector_typeIjLj3EEmmmmmmmmm
		.amdhsa_group_segment_fixed_size 0
		.amdhsa_private_segment_fixed_size 0
		.amdhsa_kernarg_size 384
		.amdhsa_user_sgpr_count 6
		.amdhsa_user_sgpr_private_segment_buffer 1
		.amdhsa_user_sgpr_dispatch_ptr 0
		.amdhsa_user_sgpr_queue_ptr 0
		.amdhsa_user_sgpr_kernarg_segment_ptr 1
		.amdhsa_user_sgpr_dispatch_id 0
		.amdhsa_user_sgpr_flat_scratch_init 0
		.amdhsa_user_sgpr_private_segment_size 0
		.amdhsa_uses_dynamic_stack 0
		.amdhsa_system_sgpr_private_segment_wavefront_offset 0
		.amdhsa_system_sgpr_workgroup_id_x 1
		.amdhsa_system_sgpr_workgroup_id_y 1
		.amdhsa_system_sgpr_workgroup_id_z 1
		.amdhsa_system_sgpr_workgroup_info 0
		.amdhsa_system_vgpr_workitem_id 0
		.amdhsa_next_free_vgpr 18
		.amdhsa_next_free_sgpr 44
		.amdhsa_reserve_vcc 1
		.amdhsa_reserve_flat_scratch 0
		.amdhsa_float_round_mode_32 0
		.amdhsa_float_round_mode_16_64 0
		.amdhsa_float_denorm_mode_32 3
		.amdhsa_float_denorm_mode_16_64 3
		.amdhsa_dx10_clamp 1
		.amdhsa_ieee_mode 1
		.amdhsa_fp16_overflow 0
		.amdhsa_exception_fp_ieee_invalid_op 0
		.amdhsa_exception_fp_denorm_src 0
		.amdhsa_exception_fp_ieee_div_zero 0
		.amdhsa_exception_fp_ieee_overflow 0
		.amdhsa_exception_fp_ieee_underflow 0
		.amdhsa_exception_fp_ieee_inexact 0
		.amdhsa_exception_int_div_zero 0
	.end_amdhsa_kernel
	.section	.text._ZL16k_get_rows_floatIifEvPKT_PKiPT0_ll15HIP_vector_typeIjLj3EEmmmmmmmmm,"axG",@progbits,_ZL16k_get_rows_floatIifEvPKT_PKiPT0_ll15HIP_vector_typeIjLj3EEmmmmmmmmm,comdat
.Lfunc_end2:
	.size	_ZL16k_get_rows_floatIifEvPKT_PKiPT0_ll15HIP_vector_typeIjLj3EEmmmmmmmmm, .Lfunc_end2-_ZL16k_get_rows_floatIifEvPKT_PKiPT0_ll15HIP_vector_typeIjLj3EEmmmmmmmmm
                                        ; -- End function
	.set _ZL16k_get_rows_floatIifEvPKT_PKiPT0_ll15HIP_vector_typeIjLj3EEmmmmmmmmm.num_vgpr, 18
	.set _ZL16k_get_rows_floatIifEvPKT_PKiPT0_ll15HIP_vector_typeIjLj3EEmmmmmmmmm.num_agpr, 0
	.set _ZL16k_get_rows_floatIifEvPKT_PKiPT0_ll15HIP_vector_typeIjLj3EEmmmmmmmmm.numbered_sgpr, 44
	.set _ZL16k_get_rows_floatIifEvPKT_PKiPT0_ll15HIP_vector_typeIjLj3EEmmmmmmmmm.num_named_barrier, 0
	.set _ZL16k_get_rows_floatIifEvPKT_PKiPT0_ll15HIP_vector_typeIjLj3EEmmmmmmmmm.private_seg_size, 0
	.set _ZL16k_get_rows_floatIifEvPKT_PKiPT0_ll15HIP_vector_typeIjLj3EEmmmmmmmmm.uses_vcc, 1
	.set _ZL16k_get_rows_floatIifEvPKT_PKiPT0_ll15HIP_vector_typeIjLj3EEmmmmmmmmm.uses_flat_scratch, 0
	.set _ZL16k_get_rows_floatIifEvPKT_PKiPT0_ll15HIP_vector_typeIjLj3EEmmmmmmmmm.has_dyn_sized_stack, 0
	.set _ZL16k_get_rows_floatIifEvPKT_PKiPT0_ll15HIP_vector_typeIjLj3EEmmmmmmmmm.has_recursion, 0
	.set _ZL16k_get_rows_floatIifEvPKT_PKiPT0_ll15HIP_vector_typeIjLj3EEmmmmmmmmm.has_indirect_call, 0
	.section	.AMDGPU.csdata,"",@progbits
; Kernel info:
; codeLenInByte = 708
; TotalNumSgprs: 48
; NumVgprs: 18
; ScratchSize: 0
; MemoryBound: 0
; FloatMode: 240
; IeeeMode: 1
; LDSByteSize: 0 bytes/workgroup (compile time only)
; SGPRBlocks: 5
; VGPRBlocks: 4
; NumSGPRsForWavesPerEU: 48
; NumVGPRsForWavesPerEU: 18
; Occupancy: 10
; WaveLimiterHint : 1
; COMPUTE_PGM_RSRC2:SCRATCH_EN: 0
; COMPUTE_PGM_RSRC2:USER_SGPR: 6
; COMPUTE_PGM_RSRC2:TRAP_HANDLER: 0
; COMPUTE_PGM_RSRC2:TGID_X_EN: 1
; COMPUTE_PGM_RSRC2:TGID_Y_EN: 1
; COMPUTE_PGM_RSRC2:TGID_Z_EN: 1
; COMPUTE_PGM_RSRC2:TIDIG_COMP_CNT: 0
	.section	.text._ZL16k_get_rows_floatI14__hip_bfloat16fEvPKT_PKiPT0_ll15HIP_vector_typeIjLj3EEmmmmmmmmm,"axG",@progbits,_ZL16k_get_rows_floatI14__hip_bfloat16fEvPKT_PKiPT0_ll15HIP_vector_typeIjLj3EEmmmmmmmmm,comdat
	.globl	_ZL16k_get_rows_floatI14__hip_bfloat16fEvPKT_PKiPT0_ll15HIP_vector_typeIjLj3EEmmmmmmmmm ; -- Begin function _ZL16k_get_rows_floatI14__hip_bfloat16fEvPKT_PKiPT0_ll15HIP_vector_typeIjLj3EEmmmmmmmmm
	.p2align	8
	.type	_ZL16k_get_rows_floatI14__hip_bfloat16fEvPKT_PKiPT0_ll15HIP_vector_typeIjLj3EEmmmmmmmmm,@function
_ZL16k_get_rows_floatI14__hip_bfloat16fEvPKT_PKiPT0_ll15HIP_vector_typeIjLj3EEmmmmmmmmm: ; @_ZL16k_get_rows_floatI14__hip_bfloat16fEvPKT_PKiPT0_ll15HIP_vector_typeIjLj3EEmmmmmmmmm
; %bb.0:
	s_load_dwordx2 s[0:1], s[4:5], 0x20
	s_load_dwordx2 s[2:3], s[4:5], 0x2c
	s_mov_b32 s9, 0
	v_mov_b32_e32 v1, s8
	v_mov_b32_e32 v2, s9
	s_waitcnt lgkmcnt(0)
	s_mul_i32 s1, s1, s3
	s_mul_hi_u32 s10, s0, s3
	s_add_i32 s31, s10, s1
	s_mul_i32 s30, s0, s3
	v_cmp_le_i64_e32 vcc, s[30:31], v[1:2]
	s_cbranch_vccnz .LBB3_6
; %bb.1:
	s_load_dwordx8 s[36:43], s[4:5], 0x0
	s_load_dwordx2 s[10:11], s[4:5], 0x78
	s_load_dwordx2 s[28:29], s[4:5], 0x88
	s_load_dword s33, s[4:5], 0x28
	s_load_dwordx16 s[12:27], s[4:5], 0x38
	s_add_u32 s4, s4, 0x80
	s_addc_u32 s5, s5, 0
	s_waitcnt lgkmcnt(0)
	s_and_b32 s29, s29, 0xffff
	s_mul_i32 s7, s7, s29
	v_add_u32_e32 v0, s7, v0
	s_ashr_i32 s7, s6, 31
	s_mul_hi_u32 s34, s24, s6
	s_mul_i32 s35, s24, s7
	s_add_i32 s34, s34, s35
	s_mul_i32 s25, s25, s6
	s_add_i32 s25, s34, s25
	s_mul_i32 s24, s24, s6
	s_lshl_b64 s[24:25], s[24:25], 2
	s_add_u32 s38, s38, s24
	s_mul_hi_u32 s24, s12, s6
	s_mul_i32 s7, s12, s7
	s_addc_u32 s39, s39, s25
	s_add_i32 s7, s24, s7
	s_mul_i32 s13, s13, s6
	s_add_i32 s7, s7, s13
	s_mul_i32 s6, s12, s6
	v_mov_b32_e32 v1, 0
	s_lshl_b64 s[6:7], s[6:7], 2
	v_lshlrev_b64 v[2:3], 2, v[0:1]
	s_add_u32 s6, s40, s6
	s_addc_u32 s7, s41, s7
	v_mov_b32_e32 v4, s7
	v_add_co_u32_e32 v10, vcc, s6, v2
	v_addc_co_u32_e32 v11, vcc, v4, v3, vcc
	v_lshlrev_b64 v[2:3], 1, v[0:1]
	v_mov_b32_e32 v4, s37
	v_add_co_u32_e32 v12, vcc, s36, v2
	v_cmp_gt_i64_e64 s[0:1], s[42:43], v[0:1]
	v_addc_co_u32_e32 v13, vcc, v4, v3, vcc
	v_mov_b32_e32 v2, s30
	s_lshl_b64 s[6:7], s[14:15], 2
	s_lshl_b64 s[12:13], s[16:17], 2
	v_mov_b32_e32 v3, s31
	s_mov_b64 s[14:15], s[8:9]
	s_branch .LBB3_3
.LBB3_2:                                ;   in Loop: Header=BB3_3 Depth=1
	s_or_b64 exec, exec, s[16:17]
	s_add_u32 s14, s14, s28
	s_addc_u32 s15, s15, 0
	v_cmp_lt_i64_e32 vcc, s[14:15], v[2:3]
	s_cbranch_vccz .LBB3_6
.LBB3_3:                                ; =>This Loop Header: Depth=1
                                        ;     Child Loop BB3_5 Depth 2
	s_and_saveexec_b64 s[16:17], s[0:1]
	s_cbranch_execz .LBB3_2
; %bb.4:                                ;   in Loop: Header=BB3_3 Depth=1
	s_mul_hi_u32 s8, s14, s33
	s_add_i32 s8, s8, s14
	s_lshr_b32 s34, s8, s2
	s_mul_i32 s8, s34, s3
	s_ashr_i32 s36, s34, 31
	s_sub_i32 s35, s14, s8
	s_mul_i32 s8, s26, s36
	s_mul_hi_u32 s24, s26, s34
	s_add_i32 s8, s24, s8
	s_mul_i32 s24, s27, s34
	s_ashr_i32 s37, s35, 31
	s_add_i32 s25, s8, s24
	s_mul_i32 s8, s10, s37
	s_mul_hi_u32 s30, s10, s35
	s_mul_i32 s24, s26, s34
	s_add_i32 s8, s30, s8
	s_mul_i32 s30, s11, s35
	s_add_i32 s31, s8, s30
	s_lshl_b64 s[24:25], s[24:25], 2
	s_mul_i32 s30, s10, s35
	s_add_u32 s8, s38, s24
	s_addc_u32 s40, s39, s25
	s_lshl_b64 s[24:25], s[30:31], 2
	s_add_u32 s24, s8, s24
	s_addc_u32 s25, s40, s25
	s_load_dword s8, s[24:25], 0x0
	s_mul_i32 s41, s20, s34
	v_mov_b32_e32 v9, v1
	v_mov_b32_e32 v8, v0
	s_waitcnt lgkmcnt(0)
	s_ashr_i32 s24, s8, 31
	s_mul_i32 s24, s18, s24
	s_mul_hi_u32 s25, s18, s8
	s_add_i32 s24, s25, s24
	s_mul_i32 s25, s19, s8
	s_add_i32 s30, s24, s25
	s_load_dword s25, s[4:5], 0x4
	s_mul_i32 s31, s18, s8
	s_mul_i32 s8, s20, s36
	s_mul_hi_u32 s24, s20, s34
	s_add_i32 s8, s24, s8
	s_mul_i32 s24, s21, s34
	s_add_i32 s40, s8, s24
	s_waitcnt lgkmcnt(0)
	s_mul_i32 s8, s25, s29
	s_mul_i32 s24, s6, s36
	s_mul_hi_u32 s25, s6, s34
	s_add_i32 s24, s25, s24
	s_mul_i32 s25, s7, s34
	s_add_i32 s24, s24, s25
	s_mul_i32 s25, s6, s34
	s_mul_i32 s34, s12, s37
	s_mul_hi_u32 s36, s12, s35
	s_add_i32 s34, s36, s34
	s_mul_i32 s36, s13, s35
	s_add_i32 s34, s34, s36
	s_mul_i32 s36, s12, s35
	s_add_u32 s25, s25, s36
	s_addc_u32 s24, s24, s34
	v_mov_b32_e32 v5, s24
	v_add_co_u32_e32 v4, vcc, s25, v10
	s_lshl_b64 s[24:25], s[8:9], 2
	s_add_u32 s31, s41, s31
	s_mul_i32 s34, s22, s37
	s_mul_hi_u32 s36, s22, s35
	s_addc_u32 s30, s40, s30
	s_add_i32 s34, s36, s34
	s_mul_i32 s36, s23, s35
	s_add_i32 s34, s34, s36
	s_mul_i32 s35, s22, s35
	s_add_u32 s31, s31, s35
	v_addc_co_u32_e32 v5, vcc, v11, v5, vcc
	s_addc_u32 s30, s30, s34
	v_mov_b32_e32 v7, s30
	v_add_co_u32_e32 v6, vcc, s31, v12
	s_lshl_b64 s[30:31], s[8:9], 1
	v_addc_co_u32_e32 v7, vcc, v13, v7, vcc
	s_mov_b64 s[34:35], 0
	v_mov_b32_e32 v14, s25
	v_mov_b32_e32 v15, s31
.LBB3_5:                                ;   Parent Loop BB3_3 Depth=1
                                        ; =>  This Inner Loop Header: Depth=2
	global_load_ushort v16, v[6:7], off
	v_add_co_u32_e32 v8, vcc, s8, v8
	v_addc_co_u32_e32 v9, vcc, 0, v9, vcc
	v_add_co_u32_e32 v6, vcc, s30, v6
	v_addc_co_u32_e32 v7, vcc, v7, v15, vcc
	v_cmp_le_i64_e32 vcc, s[42:43], v[8:9]
	s_or_b64 s[34:35], vcc, s[34:35]
	s_waitcnt vmcnt(0)
	v_lshlrev_b32_e32 v16, 16, v16
	global_store_dword v[4:5], v16, off
	v_add_co_u32_e32 v4, vcc, s24, v4
	v_addc_co_u32_e32 v5, vcc, v5, v14, vcc
	s_andn2_b64 exec, exec, s[34:35]
	s_cbranch_execnz .LBB3_5
	s_branch .LBB3_2
.LBB3_6:
	s_endpgm
	.section	.rodata,"a",@progbits
	.p2align	6, 0x0
	.amdhsa_kernel _ZL16k_get_rows_floatI14__hip_bfloat16fEvPKT_PKiPT0_ll15HIP_vector_typeIjLj3EEmmmmmmmmm
		.amdhsa_group_segment_fixed_size 0
		.amdhsa_private_segment_fixed_size 0
		.amdhsa_kernarg_size 384
		.amdhsa_user_sgpr_count 6
		.amdhsa_user_sgpr_private_segment_buffer 1
		.amdhsa_user_sgpr_dispatch_ptr 0
		.amdhsa_user_sgpr_queue_ptr 0
		.amdhsa_user_sgpr_kernarg_segment_ptr 1
		.amdhsa_user_sgpr_dispatch_id 0
		.amdhsa_user_sgpr_flat_scratch_init 0
		.amdhsa_user_sgpr_private_segment_size 0
		.amdhsa_uses_dynamic_stack 0
		.amdhsa_system_sgpr_private_segment_wavefront_offset 0
		.amdhsa_system_sgpr_workgroup_id_x 1
		.amdhsa_system_sgpr_workgroup_id_y 1
		.amdhsa_system_sgpr_workgroup_id_z 1
		.amdhsa_system_sgpr_workgroup_info 0
		.amdhsa_system_vgpr_workitem_id 0
		.amdhsa_next_free_vgpr 17
		.amdhsa_next_free_sgpr 44
		.amdhsa_reserve_vcc 1
		.amdhsa_reserve_flat_scratch 0
		.amdhsa_float_round_mode_32 0
		.amdhsa_float_round_mode_16_64 0
		.amdhsa_float_denorm_mode_32 3
		.amdhsa_float_denorm_mode_16_64 3
		.amdhsa_dx10_clamp 1
		.amdhsa_ieee_mode 1
		.amdhsa_fp16_overflow 0
		.amdhsa_exception_fp_ieee_invalid_op 0
		.amdhsa_exception_fp_denorm_src 0
		.amdhsa_exception_fp_ieee_div_zero 0
		.amdhsa_exception_fp_ieee_overflow 0
		.amdhsa_exception_fp_ieee_underflow 0
		.amdhsa_exception_fp_ieee_inexact 0
		.amdhsa_exception_int_div_zero 0
	.end_amdhsa_kernel
	.section	.text._ZL16k_get_rows_floatI14__hip_bfloat16fEvPKT_PKiPT0_ll15HIP_vector_typeIjLj3EEmmmmmmmmm,"axG",@progbits,_ZL16k_get_rows_floatI14__hip_bfloat16fEvPKT_PKiPT0_ll15HIP_vector_typeIjLj3EEmmmmmmmmm,comdat
.Lfunc_end3:
	.size	_ZL16k_get_rows_floatI14__hip_bfloat16fEvPKT_PKiPT0_ll15HIP_vector_typeIjLj3EEmmmmmmmmm, .Lfunc_end3-_ZL16k_get_rows_floatI14__hip_bfloat16fEvPKT_PKiPT0_ll15HIP_vector_typeIjLj3EEmmmmmmmmm
                                        ; -- End function
	.set _ZL16k_get_rows_floatI14__hip_bfloat16fEvPKT_PKiPT0_ll15HIP_vector_typeIjLj3EEmmmmmmmmm.num_vgpr, 17
	.set _ZL16k_get_rows_floatI14__hip_bfloat16fEvPKT_PKiPT0_ll15HIP_vector_typeIjLj3EEmmmmmmmmm.num_agpr, 0
	.set _ZL16k_get_rows_floatI14__hip_bfloat16fEvPKT_PKiPT0_ll15HIP_vector_typeIjLj3EEmmmmmmmmm.numbered_sgpr, 44
	.set _ZL16k_get_rows_floatI14__hip_bfloat16fEvPKT_PKiPT0_ll15HIP_vector_typeIjLj3EEmmmmmmmmm.num_named_barrier, 0
	.set _ZL16k_get_rows_floatI14__hip_bfloat16fEvPKT_PKiPT0_ll15HIP_vector_typeIjLj3EEmmmmmmmmm.private_seg_size, 0
	.set _ZL16k_get_rows_floatI14__hip_bfloat16fEvPKT_PKiPT0_ll15HIP_vector_typeIjLj3EEmmmmmmmmm.uses_vcc, 1
	.set _ZL16k_get_rows_floatI14__hip_bfloat16fEvPKT_PKiPT0_ll15HIP_vector_typeIjLj3EEmmmmmmmmm.uses_flat_scratch, 0
	.set _ZL16k_get_rows_floatI14__hip_bfloat16fEvPKT_PKiPT0_ll15HIP_vector_typeIjLj3EEmmmmmmmmm.has_dyn_sized_stack, 0
	.set _ZL16k_get_rows_floatI14__hip_bfloat16fEvPKT_PKiPT0_ll15HIP_vector_typeIjLj3EEmmmmmmmmm.has_recursion, 0
	.set _ZL16k_get_rows_floatI14__hip_bfloat16fEvPKT_PKiPT0_ll15HIP_vector_typeIjLj3EEmmmmmmmmm.has_indirect_call, 0
	.section	.AMDGPU.csdata,"",@progbits
; Kernel info:
; codeLenInByte = 708
; TotalNumSgprs: 48
; NumVgprs: 17
; ScratchSize: 0
; MemoryBound: 0
; FloatMode: 240
; IeeeMode: 1
; LDSByteSize: 0 bytes/workgroup (compile time only)
; SGPRBlocks: 5
; VGPRBlocks: 4
; NumSGPRsForWavesPerEU: 48
; NumVGPRsForWavesPerEU: 17
; Occupancy: 10
; WaveLimiterHint : 1
; COMPUTE_PGM_RSRC2:SCRATCH_EN: 0
; COMPUTE_PGM_RSRC2:USER_SGPR: 6
; COMPUTE_PGM_RSRC2:TRAP_HANDLER: 0
; COMPUTE_PGM_RSRC2:TGID_X_EN: 1
; COMPUTE_PGM_RSRC2:TGID_Y_EN: 1
; COMPUTE_PGM_RSRC2:TGID_Z_EN: 1
; COMPUTE_PGM_RSRC2:TIDIG_COMP_CNT: 0
	.section	.text._ZL10k_get_rowsILi128ELi1EXadL_ZL15dequantize_q1_0PKvliR15HIP_vector_typeIfLj2EEEEfEvS1_PKiPT2_llS2_IjLj3EEmmmmmmmmm,"axG",@progbits,_ZL10k_get_rowsILi128ELi1EXadL_ZL15dequantize_q1_0PKvliR15HIP_vector_typeIfLj2EEEEfEvS1_PKiPT2_llS2_IjLj3EEmmmmmmmmm,comdat
	.globl	_ZL10k_get_rowsILi128ELi1EXadL_ZL15dequantize_q1_0PKvliR15HIP_vector_typeIfLj2EEEEfEvS1_PKiPT2_llS2_IjLj3EEmmmmmmmmm ; -- Begin function _ZL10k_get_rowsILi128ELi1EXadL_ZL15dequantize_q1_0PKvliR15HIP_vector_typeIfLj2EEEEfEvS1_PKiPT2_llS2_IjLj3EEmmmmmmmmm
	.p2align	8
	.type	_ZL10k_get_rowsILi128ELi1EXadL_ZL15dequantize_q1_0PKvliR15HIP_vector_typeIfLj2EEEEfEvS1_PKiPT2_llS2_IjLj3EEmmmmmmmmm,@function
_ZL10k_get_rowsILi128ELi1EXadL_ZL15dequantize_q1_0PKvliR15HIP_vector_typeIfLj2EEEEfEvS1_PKiPT2_llS2_IjLj3EEmmmmmmmmm: ; @_ZL10k_get_rowsILi128ELi1EXadL_ZL15dequantize_q1_0PKvliR15HIP_vector_typeIfLj2EEEEfEvS1_PKiPT2_llS2_IjLj3EEmmmmmmmmm
; %bb.0:
	s_load_dwordx4 s[28:31], s[4:5], 0x18
	s_load_dwordx2 s[10:11], s[4:5], 0x2c
	s_mov_b32 s9, 0
	v_mov_b32_e32 v1, s8
	v_mov_b32_e32 v2, s9
	s_waitcnt lgkmcnt(0)
	s_mul_i32 s0, s31, s11
	s_mul_hi_u32 s1, s30, s11
	s_add_i32 s31, s1, s0
	s_mul_i32 s30, s30, s11
	v_cmp_le_i64_e32 vcc, s[30:31], v[1:2]
	s_cbranch_vccnz .LBB4_6
; %bb.1:
	s_load_dwordx4 s[36:39], s[4:5], 0x0
	s_load_dwordx2 s[2:3], s[4:5], 0x10
	s_load_dwordx2 s[34:35], s[4:5], 0x78
	;; [unrolled: 1-line block ×3, first 2 shown]
	s_load_dword s33, s[4:5], 0x28
	s_load_dwordx16 s[12:27], s[4:5], 0x38
	s_add_u32 s4, s4, 0x80
	s_addc_u32 s5, s5, 0
	s_waitcnt lgkmcnt(0)
	s_and_b32 s41, s41, 0xffff
	s_mul_i32 s7, s7, s41
	v_add_lshl_u32 v0, s7, v0, 1
	s_ashr_i32 s7, s6, 31
	s_mul_hi_u32 s42, s24, s6
	s_mul_i32 s43, s24, s7
	s_add_i32 s42, s42, s43
	s_mul_i32 s25, s25, s6
	s_add_i32 s25, s42, s25
	s_mul_i32 s24, s24, s6
	s_lshl_b64 s[24:25], s[24:25], 2
	s_add_u32 s44, s38, s24
	s_mul_hi_u32 s24, s12, s6
	s_mul_i32 s7, s12, s7
	s_addc_u32 s45, s39, s25
	s_add_i32 s7, s24, s7
	s_mul_i32 s13, s13, s6
	s_add_i32 s7, s7, s13
	s_mul_i32 s6, s12, s6
	v_mov_b32_e32 v1, 0
	s_lshl_b64 s[6:7], s[6:7], 2
	v_cmp_gt_i64_e64 s[0:1], s[28:29], v[0:1]
	s_add_u32 s46, s2, s6
	v_lshlrev_b64 v[2:3], 25, v[0:1]
	s_addc_u32 s47, s3, s7
	v_mov_b32_e32 v4, v1
	v_mov_b32_e32 v5, v0
	s_mov_b64 s[6:7], s[8:9]
	s_branch .LBB4_3
.LBB4_2:                                ;   in Loop: Header=BB4_3 Depth=1
	s_or_b64 exec, exec, s[12:13]
	s_add_u32 s6, s6, s40
	v_mov_b32_e32 v6, s30
	s_addc_u32 s7, s7, 0
	v_mov_b32_e32 v7, s31
	v_cmp_ge_i64_e32 vcc, s[6:7], v[6:7]
	s_cbranch_vccnz .LBB4_6
.LBB4_3:                                ; =>This Loop Header: Depth=1
                                        ;     Child Loop BB4_5 Depth 2
	s_and_saveexec_b64 s[12:13], s[0:1]
	s_cbranch_execz .LBB4_2
; %bb.4:                                ;   in Loop: Header=BB4_3 Depth=1
	s_mul_hi_u32 s2, s6, s33
	s_add_i32 s2, s2, s6
	s_lshr_b32 s8, s2, s10
	s_mul_i32 s2, s8, s11
	s_sub_i32 s38, s6, s2
	s_ashr_i32 s39, s8, 31
	s_mul_i32 s2, s26, s39
	s_mul_hi_u32 s3, s26, s8
	s_ashr_i32 s42, s38, 31
	s_add_i32 s2, s3, s2
	s_mul_i32 s3, s27, s8
	s_mul_i32 s24, s34, s42
	s_mul_hi_u32 s25, s34, s38
	s_add_i32 s3, s2, s3
	s_mul_i32 s2, s26, s8
	s_add_i32 s24, s25, s24
	s_mul_i32 s25, s35, s38
	s_add_i32 s25, s24, s25
	s_lshl_b64 s[2:3], s[2:3], 2
	s_mul_i32 s24, s34, s38
	s_add_u32 s43, s44, s2
	s_addc_u32 s48, s45, s3
	s_lshl_b64 s[2:3], s[24:25], 2
	s_add_u32 s2, s43, s2
	s_addc_u32 s3, s48, s3
	s_load_dword s24, s[2:3], 0x0
	s_mul_i32 s2, s14, s39
	s_mul_hi_u32 s3, s14, s8
	s_add_i32 s2, s3, s2
	s_mul_i32 s3, s15, s8
	s_add_i32 s3, s2, s3
	s_mul_i32 s2, s14, s8
	s_waitcnt lgkmcnt(0)
	s_ashr_i32 s25, s24, 31
	s_lshl_b64 s[2:3], s[2:3], 2
	s_add_u32 s43, s46, s2
	s_addc_u32 s49, s47, s3
	s_mul_i32 s2, s16, s42
	s_mul_hi_u32 s3, s16, s38
	s_add_i32 s2, s3, s2
	s_mul_i32 s3, s17, s38
	s_add_i32 s3, s2, s3
	s_mul_i32 s2, s16, s38
	s_lshl_b64 s[2:3], s[2:3], 2
	s_add_u32 s48, s43, s2
	s_addc_u32 s2, s49, s3
	s_mul_i32 s3, s18, s25
	s_mul_hi_u32 s25, s18, s24
	s_add_i32 s3, s25, s3
	s_mul_i32 s25, s19, s24
	s_add_i32 s3, s3, s25
	s_mul_i32 s24, s18, s24
	s_add_u32 s24, s36, s24
	s_mul_i32 s25, s20, s39
	s_mul_hi_u32 s39, s20, s8
	s_addc_u32 s3, s37, s3
	s_add_i32 s25, s39, s25
	s_mul_i32 s39, s21, s8
	s_add_i32 s25, s25, s39
	s_mul_i32 s8, s20, s8
	s_load_dword s39, s[4:5], 0x4
	s_add_u32 s8, s24, s8
	s_addc_u32 s3, s3, s25
	s_mul_i32 s24, s22, s42
	s_mul_hi_u32 s25, s22, s38
	s_add_i32 s24, s25, s24
	s_mul_i32 s25, s23, s38
	s_add_i32 s25, s24, s25
	s_mul_i32 s24, s22, s38
	s_add_u32 s24, s8, s24
	s_waitcnt lgkmcnt(0)
	s_mul_i32 s8, s39, s41
	s_addc_u32 s25, s3, s25
	s_lshl_b64 s[38:39], s[8:9], 25
	v_mov_b32_e32 v7, v5
	v_mov_b32_e32 v9, v3
	;; [unrolled: 1-line block ×3, first 2 shown]
	s_mov_b64 s[42:43], 0
	v_mov_b32_e32 v12, s2
	v_mov_b32_e32 v13, s39
	v_mov_b32_e32 v14, s8
	v_mov_b32_e32 v6, v4
	v_mov_b32_e32 v8, v2
	v_mov_b32_e32 v10, v0
.LBB4_5:                                ;   Parent Loop BB4_3 Depth=1
                                        ; =>  This Inner Loop Header: Depth=2
	v_mad_i64_i32 v[15:16], s[2:3], v9, 18, s[24:25]
	v_and_b32_e32 v17, 0x7f, v10
	v_bfe_u32 v18, v10, 3, 4
	v_add_u32_e32 v21, 1, v17
	v_add_co_u32_e32 v17, vcc, v15, v18
	v_lshrrev_b32_e32 v19, 3, v21
	v_addc_co_u32_e32 v18, vcc, 0, v16, vcc
	v_add_co_u32_e32 v19, vcc, v15, v19
	v_addc_co_u32_e32 v20, vcc, 0, v16, vcc
	global_load_ushort v22, v[15:16], off
	global_load_ubyte v23, v[17:18], off offset:2
	global_load_ubyte v24, v[19:20], off offset:2
	v_and_b32_e32 v17, 7, v10
	v_and_b32_e32 v18, 7, v21
	v_add_co_u32_e32 v10, vcc, s8, v10
	v_addc_co_u32_e32 v11, vcc, 0, v11, vcc
	v_add_co_u32_e32 v8, vcc, s38, v8
	v_addc_co_u32_e32 v9, vcc, v9, v13, vcc
	v_ashrrev_i64 v[15:16], 30, v[6:7]
	v_add_co_u32_e32 v6, vcc, 0, v6
	v_addc_co_u32_e32 v7, vcc, v7, v14, vcc
	v_cmp_le_i64_e32 vcc, s[28:29], v[10:11]
	v_add_co_u32_e64 v15, s[2:3], s48, v15
	v_addc_co_u32_e64 v16, s[2:3], v12, v16, s[2:3]
	s_or_b64 s[42:43], vcc, s[42:43]
	s_waitcnt vmcnt(2)
	v_cvt_f32_f16_e32 v19, v22
	s_waitcnt vmcnt(1)
	v_lshrrev_b32_e32 v17, v17, v23
	s_waitcnt vmcnt(0)
	v_lshrrev_b32_e32 v18, v18, v24
	v_lshlrev_b32_e32 v17, 1, v17
	v_lshlrev_b32_e32 v18, 1, v18
	v_and_b32_e32 v17, 2, v17
	v_and_b32_e32 v18, 2, v18
	v_add_u32_e32 v17, -1, v17
	v_add_u32_e32 v18, -1, v18
	v_cvt_f32_i32_e32 v17, v17
	v_cvt_f32_i32_e32 v18, v18
	v_mul_f32_e32 v17, v19, v17
	v_mul_f32_e32 v18, v19, v18
	global_store_dwordx2 v[15:16], v[17:18], off
	s_andn2_b64 exec, exec, s[42:43]
	s_cbranch_execnz .LBB4_5
	s_branch .LBB4_2
.LBB4_6:
	s_endpgm
	.section	.rodata,"a",@progbits
	.p2align	6, 0x0
	.amdhsa_kernel _ZL10k_get_rowsILi128ELi1EXadL_ZL15dequantize_q1_0PKvliR15HIP_vector_typeIfLj2EEEEfEvS1_PKiPT2_llS2_IjLj3EEmmmmmmmmm
		.amdhsa_group_segment_fixed_size 0
		.amdhsa_private_segment_fixed_size 0
		.amdhsa_kernarg_size 384
		.amdhsa_user_sgpr_count 6
		.amdhsa_user_sgpr_private_segment_buffer 1
		.amdhsa_user_sgpr_dispatch_ptr 0
		.amdhsa_user_sgpr_queue_ptr 0
		.amdhsa_user_sgpr_kernarg_segment_ptr 1
		.amdhsa_user_sgpr_dispatch_id 0
		.amdhsa_user_sgpr_flat_scratch_init 0
		.amdhsa_user_sgpr_private_segment_size 0
		.amdhsa_uses_dynamic_stack 0
		.amdhsa_system_sgpr_private_segment_wavefront_offset 0
		.amdhsa_system_sgpr_workgroup_id_x 1
		.amdhsa_system_sgpr_workgroup_id_y 1
		.amdhsa_system_sgpr_workgroup_id_z 1
		.amdhsa_system_sgpr_workgroup_info 0
		.amdhsa_system_vgpr_workitem_id 0
		.amdhsa_next_free_vgpr 25
		.amdhsa_next_free_sgpr 50
		.amdhsa_reserve_vcc 1
		.amdhsa_reserve_flat_scratch 0
		.amdhsa_float_round_mode_32 0
		.amdhsa_float_round_mode_16_64 0
		.amdhsa_float_denorm_mode_32 3
		.amdhsa_float_denorm_mode_16_64 3
		.amdhsa_dx10_clamp 1
		.amdhsa_ieee_mode 1
		.amdhsa_fp16_overflow 0
		.amdhsa_exception_fp_ieee_invalid_op 0
		.amdhsa_exception_fp_denorm_src 0
		.amdhsa_exception_fp_ieee_div_zero 0
		.amdhsa_exception_fp_ieee_overflow 0
		.amdhsa_exception_fp_ieee_underflow 0
		.amdhsa_exception_fp_ieee_inexact 0
		.amdhsa_exception_int_div_zero 0
	.end_amdhsa_kernel
	.section	.text._ZL10k_get_rowsILi128ELi1EXadL_ZL15dequantize_q1_0PKvliR15HIP_vector_typeIfLj2EEEEfEvS1_PKiPT2_llS2_IjLj3EEmmmmmmmmm,"axG",@progbits,_ZL10k_get_rowsILi128ELi1EXadL_ZL15dequantize_q1_0PKvliR15HIP_vector_typeIfLj2EEEEfEvS1_PKiPT2_llS2_IjLj3EEmmmmmmmmm,comdat
.Lfunc_end4:
	.size	_ZL10k_get_rowsILi128ELi1EXadL_ZL15dequantize_q1_0PKvliR15HIP_vector_typeIfLj2EEEEfEvS1_PKiPT2_llS2_IjLj3EEmmmmmmmmm, .Lfunc_end4-_ZL10k_get_rowsILi128ELi1EXadL_ZL15dequantize_q1_0PKvliR15HIP_vector_typeIfLj2EEEEfEvS1_PKiPT2_llS2_IjLj3EEmmmmmmmmm
                                        ; -- End function
	.set _ZL10k_get_rowsILi128ELi1EXadL_ZL15dequantize_q1_0PKvliR15HIP_vector_typeIfLj2EEEEfEvS1_PKiPT2_llS2_IjLj3EEmmmmmmmmm.num_vgpr, 25
	.set _ZL10k_get_rowsILi128ELi1EXadL_ZL15dequantize_q1_0PKvliR15HIP_vector_typeIfLj2EEEEfEvS1_PKiPT2_llS2_IjLj3EEmmmmmmmmm.num_agpr, 0
	.set _ZL10k_get_rowsILi128ELi1EXadL_ZL15dequantize_q1_0PKvliR15HIP_vector_typeIfLj2EEEEfEvS1_PKiPT2_llS2_IjLj3EEmmmmmmmmm.numbered_sgpr, 50
	.set _ZL10k_get_rowsILi128ELi1EXadL_ZL15dequantize_q1_0PKvliR15HIP_vector_typeIfLj2EEEEfEvS1_PKiPT2_llS2_IjLj3EEmmmmmmmmm.num_named_barrier, 0
	.set _ZL10k_get_rowsILi128ELi1EXadL_ZL15dequantize_q1_0PKvliR15HIP_vector_typeIfLj2EEEEfEvS1_PKiPT2_llS2_IjLj3EEmmmmmmmmm.private_seg_size, 0
	.set _ZL10k_get_rowsILi128ELi1EXadL_ZL15dequantize_q1_0PKvliR15HIP_vector_typeIfLj2EEEEfEvS1_PKiPT2_llS2_IjLj3EEmmmmmmmmm.uses_vcc, 1
	.set _ZL10k_get_rowsILi128ELi1EXadL_ZL15dequantize_q1_0PKvliR15HIP_vector_typeIfLj2EEEEfEvS1_PKiPT2_llS2_IjLj3EEmmmmmmmmm.uses_flat_scratch, 0
	.set _ZL10k_get_rowsILi128ELi1EXadL_ZL15dequantize_q1_0PKvliR15HIP_vector_typeIfLj2EEEEfEvS1_PKiPT2_llS2_IjLj3EEmmmmmmmmm.has_dyn_sized_stack, 0
	.set _ZL10k_get_rowsILi128ELi1EXadL_ZL15dequantize_q1_0PKvliR15HIP_vector_typeIfLj2EEEEfEvS1_PKiPT2_llS2_IjLj3EEmmmmmmmmm.has_recursion, 0
	.set _ZL10k_get_rowsILi128ELi1EXadL_ZL15dequantize_q1_0PKvliR15HIP_vector_typeIfLj2EEEEfEvS1_PKiPT2_llS2_IjLj3EEmmmmmmmmm.has_indirect_call, 0
	.section	.AMDGPU.csdata,"",@progbits
; Kernel info:
; codeLenInByte = 856
; TotalNumSgprs: 54
; NumVgprs: 25
; ScratchSize: 0
; MemoryBound: 0
; FloatMode: 240
; IeeeMode: 1
; LDSByteSize: 0 bytes/workgroup (compile time only)
; SGPRBlocks: 6
; VGPRBlocks: 6
; NumSGPRsForWavesPerEU: 54
; NumVGPRsForWavesPerEU: 25
; Occupancy: 9
; WaveLimiterHint : 1
; COMPUTE_PGM_RSRC2:SCRATCH_EN: 0
; COMPUTE_PGM_RSRC2:USER_SGPR: 6
; COMPUTE_PGM_RSRC2:TRAP_HANDLER: 0
; COMPUTE_PGM_RSRC2:TGID_X_EN: 1
; COMPUTE_PGM_RSRC2:TGID_Y_EN: 1
; COMPUTE_PGM_RSRC2:TGID_Z_EN: 1
; COMPUTE_PGM_RSRC2:TIDIG_COMP_CNT: 0
	.section	.text._ZL10k_get_rowsILi32ELi2EXadL_ZL15dequantize_q4_0PKvliR15HIP_vector_typeIfLj2EEEEfEvS1_PKiPT2_llS2_IjLj3EEmmmmmmmmm,"axG",@progbits,_ZL10k_get_rowsILi32ELi2EXadL_ZL15dequantize_q4_0PKvliR15HIP_vector_typeIfLj2EEEEfEvS1_PKiPT2_llS2_IjLj3EEmmmmmmmmm,comdat
	.globl	_ZL10k_get_rowsILi32ELi2EXadL_ZL15dequantize_q4_0PKvliR15HIP_vector_typeIfLj2EEEEfEvS1_PKiPT2_llS2_IjLj3EEmmmmmmmmm ; -- Begin function _ZL10k_get_rowsILi32ELi2EXadL_ZL15dequantize_q4_0PKvliR15HIP_vector_typeIfLj2EEEEfEvS1_PKiPT2_llS2_IjLj3EEmmmmmmmmm
	.p2align	8
	.type	_ZL10k_get_rowsILi32ELi2EXadL_ZL15dequantize_q4_0PKvliR15HIP_vector_typeIfLj2EEEEfEvS1_PKiPT2_llS2_IjLj3EEmmmmmmmmm,@function
_ZL10k_get_rowsILi32ELi2EXadL_ZL15dequantize_q4_0PKvliR15HIP_vector_typeIfLj2EEEEfEvS1_PKiPT2_llS2_IjLj3EEmmmmmmmmm: ; @_ZL10k_get_rowsILi32ELi2EXadL_ZL15dequantize_q4_0PKvliR15HIP_vector_typeIfLj2EEEEfEvS1_PKiPT2_llS2_IjLj3EEmmmmmmmmm
; %bb.0:
	s_load_dwordx4 s[28:31], s[4:5], 0x18
	s_load_dwordx2 s[2:3], s[4:5], 0x2c
	s_mov_b32 s9, 0
	v_mov_b32_e32 v1, s8
	v_mov_b32_e32 v2, s9
	s_waitcnt lgkmcnt(0)
	s_mul_i32 s0, s31, s3
	s_mul_hi_u32 s1, s30, s3
	s_add_i32 s35, s1, s0
	s_mul_i32 s34, s30, s3
	v_cmp_le_i64_e32 vcc, s[34:35], v[1:2]
	s_cbranch_vccnz .LBB5_6
; %bb.1:
	s_load_dwordx4 s[36:39], s[4:5], 0x0
	s_load_dwordx2 s[42:43], s[4:5], 0x10
	s_load_dwordx2 s[10:11], s[4:5], 0x78
	;; [unrolled: 1-line block ×3, first 2 shown]
	s_load_dword s33, s[4:5], 0x28
	s_load_dwordx16 s[12:27], s[4:5], 0x38
	s_add_u32 s4, s4, 0x80
	s_addc_u32 s5, s5, 0
	s_waitcnt lgkmcnt(0)
	s_and_b32 s31, s31, 0xffff
	s_mul_i32 s7, s7, s31
	v_add_lshl_u32 v0, s7, v0, 1
	s_ashr_i32 s7, s6, 31
	s_mul_hi_u32 s40, s24, s6
	s_mul_i32 s41, s24, s7
	s_add_i32 s40, s40, s41
	s_mul_i32 s25, s25, s6
	s_add_i32 s25, s40, s25
	s_mul_i32 s24, s24, s6
	s_lshl_b64 s[24:25], s[24:25], 2
	s_add_u32 s40, s38, s24
	s_mul_hi_u32 s24, s12, s6
	s_mul_i32 s7, s12, s7
	s_addc_u32 s41, s39, s25
	s_add_i32 s7, s24, s7
	s_mul_i32 s13, s13, s6
	s_add_i32 s7, s7, s13
	s_mul_i32 s6, s12, s6
	v_mov_b32_e32 v1, 0
	s_lshl_b64 s[6:7], s[6:7], 2
	v_cmp_gt_i64_e64 s[0:1], s[28:29], v[0:1]
	s_add_u32 s42, s42, s6
	v_lshlrev_b64 v[2:3], 27, v[0:1]
	v_mov_b32_e32 v4, s34
	s_addc_u32 s43, s43, s7
	s_movk_i32 s44, 0xffe0
	v_mov_b32_e32 v5, s35
	s_mov_b64 s[6:7], s[8:9]
	s_branch .LBB5_3
.LBB5_2:                                ;   in Loop: Header=BB5_3 Depth=1
	s_or_b64 exec, exec, s[12:13]
	s_add_u32 s6, s6, s30
	s_addc_u32 s7, s7, 0
	v_cmp_ge_i64_e32 vcc, s[6:7], v[4:5]
	s_cbranch_vccnz .LBB5_6
.LBB5_3:                                ; =>This Loop Header: Depth=1
                                        ;     Child Loop BB5_5 Depth 2
	s_and_saveexec_b64 s[12:13], s[0:1]
	s_cbranch_execz .LBB5_2
; %bb.4:                                ;   in Loop: Header=BB5_3 Depth=1
	s_mul_hi_u32 s8, s6, s33
	s_add_i32 s8, s8, s6
	s_lshr_b32 s8, s8, s2
	s_mul_i32 s24, s8, s3
	s_sub_i32 s38, s6, s24
	s_ashr_i32 s39, s8, 31
	s_mul_i32 s24, s26, s39
	s_mul_hi_u32 s25, s26, s8
	s_ashr_i32 s46, s38, 31
	s_add_i32 s24, s25, s24
	s_mul_i32 s25, s27, s8
	s_mul_i32 s34, s10, s46
	s_mul_hi_u32 s35, s10, s38
	s_add_i32 s25, s24, s25
	s_mul_i32 s24, s26, s8
	s_add_i32 s34, s35, s34
	s_mul_i32 s35, s11, s38
	s_add_i32 s35, s34, s35
	s_lshl_b64 s[24:25], s[24:25], 2
	s_mul_i32 s34, s10, s38
	s_add_u32 s45, s40, s24
	s_addc_u32 s47, s41, s25
	s_lshl_b64 s[24:25], s[34:35], 2
	s_add_u32 s24, s45, s24
	s_addc_u32 s25, s47, s25
	s_load_dword s34, s[24:25], 0x0
	s_mul_i32 s24, s14, s39
	s_mul_hi_u32 s25, s14, s8
	s_add_i32 s24, s25, s24
	s_mul_i32 s25, s15, s8
	s_add_i32 s25, s24, s25
	s_mul_i32 s24, s14, s8
	s_waitcnt lgkmcnt(0)
	s_ashr_i32 s35, s34, 31
	s_lshl_b64 s[24:25], s[24:25], 2
	s_add_u32 s45, s42, s24
	s_addc_u32 s47, s43, s25
	s_mul_i32 s24, s16, s46
	s_mul_hi_u32 s25, s16, s38
	s_add_i32 s24, s25, s24
	s_mul_i32 s25, s17, s38
	s_add_i32 s25, s24, s25
	s_mul_i32 s24, s16, s38
	s_lshl_b64 s[24:25], s[24:25], 2
	s_add_u32 s45, s45, s24
	s_addc_u32 s47, s47, s25
	s_mul_i32 s24, s18, s35
	s_mul_hi_u32 s25, s18, s34
	s_add_i32 s24, s25, s24
	s_mul_i32 s25, s19, s34
	s_add_i32 s24, s24, s25
	s_mul_i32 s25, s18, s34
	s_add_u32 s25, s36, s25
	s_mul_i32 s34, s20, s39
	s_mul_hi_u32 s35, s20, s8
	s_addc_u32 s24, s37, s24
	s_add_i32 s34, s35, s34
	s_mul_i32 s35, s21, s8
	s_add_i32 s34, s34, s35
	s_mul_i32 s8, s20, s8
	s_load_dword s35, s[4:5], 0x4
	s_add_u32 s8, s25, s8
	s_addc_u32 s25, s24, s34
	s_mul_i32 s24, s22, s46
	s_mul_hi_u32 s34, s22, s38
	s_add_i32 s24, s34, s24
	s_mul_i32 s34, s23, s38
	s_add_i32 s34, s24, s34
	s_mul_i32 s24, s22, s38
	s_add_u32 s24, s8, s24
	s_waitcnt lgkmcnt(0)
	s_mul_i32 s8, s35, s31
	s_addc_u32 s25, s25, s34
	s_lshl_b64 s[34:35], s[8:9], 27
	v_mov_b32_e32 v7, v3
	v_mov_b32_e32 v9, v1
	s_mov_b64 s[38:39], 0
	v_mov_b32_e32 v10, s47
	v_mov_b32_e32 v11, s35
	;; [unrolled: 1-line block ×4, first 2 shown]
.LBB5_5:                                ;   Parent Loop BB5_3 Depth=1
                                        ; =>  This Inner Loop Header: Depth=2
	v_mad_i64_i32 v[12:13], s[46:47], v7, 18, s[24:25]
	v_bfe_u32 v16, v8, 1, 4
	v_add_co_u32_e32 v14, vcc, v12, v16
	v_addc_co_u32_e32 v15, vcc, 0, v13, vcc
	global_load_ushort v17, v[12:13], off
	global_load_ubyte v18, v[14:15], off offset:2
	v_add_co_u32_e32 v6, vcc, s34, v6
	v_addc_co_u32_e32 v7, vcc, v7, v11, vcc
	v_and_or_b32 v12, v8, s44, v16
	v_add_co_u32_e32 v8, vcc, s8, v8
	v_addc_co_u32_e32 v9, vcc, 0, v9, vcc
	v_ashrrev_i32_e32 v13, 31, v12
	v_cmp_le_i64_e32 vcc, s[28:29], v[8:9]
	v_lshlrev_b64 v[12:13], 2, v[12:13]
	s_or_b64 s[38:39], vcc, s[38:39]
	v_add_co_u32_e32 v12, vcc, s45, v12
	v_addc_co_u32_e32 v13, vcc, v10, v13, vcc
	s_waitcnt vmcnt(1)
	v_cvt_f32_f16_e32 v14, v17
	s_waitcnt vmcnt(0)
	v_and_b32_e32 v15, 15, v18
	v_lshrrev_b32_e32 v16, 4, v18
	v_add_u32_e32 v15, -8, v15
	v_add_u32_e32 v16, -8, v16
	v_cvt_f32_i32_e32 v15, v15
	v_cvt_f32_i32_e32 v16, v16
	v_mul_f32_e32 v15, v14, v15
	v_mul_f32_e32 v14, v14, v16
	global_store_dword v[12:13], v15, off
	global_store_dword v[12:13], v14, off offset:64
	s_andn2_b64 exec, exec, s[38:39]
	s_cbranch_execnz .LBB5_5
	s_branch .LBB5_2
.LBB5_6:
	s_endpgm
	.section	.rodata,"a",@progbits
	.p2align	6, 0x0
	.amdhsa_kernel _ZL10k_get_rowsILi32ELi2EXadL_ZL15dequantize_q4_0PKvliR15HIP_vector_typeIfLj2EEEEfEvS1_PKiPT2_llS2_IjLj3EEmmmmmmmmm
		.amdhsa_group_segment_fixed_size 0
		.amdhsa_private_segment_fixed_size 0
		.amdhsa_kernarg_size 384
		.amdhsa_user_sgpr_count 6
		.amdhsa_user_sgpr_private_segment_buffer 1
		.amdhsa_user_sgpr_dispatch_ptr 0
		.amdhsa_user_sgpr_queue_ptr 0
		.amdhsa_user_sgpr_kernarg_segment_ptr 1
		.amdhsa_user_sgpr_dispatch_id 0
		.amdhsa_user_sgpr_flat_scratch_init 0
		.amdhsa_user_sgpr_private_segment_size 0
		.amdhsa_uses_dynamic_stack 0
		.amdhsa_system_sgpr_private_segment_wavefront_offset 0
		.amdhsa_system_sgpr_workgroup_id_x 1
		.amdhsa_system_sgpr_workgroup_id_y 1
		.amdhsa_system_sgpr_workgroup_id_z 1
		.amdhsa_system_sgpr_workgroup_info 0
		.amdhsa_system_vgpr_workitem_id 0
		.amdhsa_next_free_vgpr 19
		.amdhsa_next_free_sgpr 48
		.amdhsa_reserve_vcc 1
		.amdhsa_reserve_flat_scratch 0
		.amdhsa_float_round_mode_32 0
		.amdhsa_float_round_mode_16_64 0
		.amdhsa_float_denorm_mode_32 3
		.amdhsa_float_denorm_mode_16_64 3
		.amdhsa_dx10_clamp 1
		.amdhsa_ieee_mode 1
		.amdhsa_fp16_overflow 0
		.amdhsa_exception_fp_ieee_invalid_op 0
		.amdhsa_exception_fp_denorm_src 0
		.amdhsa_exception_fp_ieee_div_zero 0
		.amdhsa_exception_fp_ieee_overflow 0
		.amdhsa_exception_fp_ieee_underflow 0
		.amdhsa_exception_fp_ieee_inexact 0
		.amdhsa_exception_int_div_zero 0
	.end_amdhsa_kernel
	.section	.text._ZL10k_get_rowsILi32ELi2EXadL_ZL15dequantize_q4_0PKvliR15HIP_vector_typeIfLj2EEEEfEvS1_PKiPT2_llS2_IjLj3EEmmmmmmmmm,"axG",@progbits,_ZL10k_get_rowsILi32ELi2EXadL_ZL15dequantize_q4_0PKvliR15HIP_vector_typeIfLj2EEEEfEvS1_PKiPT2_llS2_IjLj3EEmmmmmmmmm,comdat
.Lfunc_end5:
	.size	_ZL10k_get_rowsILi32ELi2EXadL_ZL15dequantize_q4_0PKvliR15HIP_vector_typeIfLj2EEEEfEvS1_PKiPT2_llS2_IjLj3EEmmmmmmmmm, .Lfunc_end5-_ZL10k_get_rowsILi32ELi2EXadL_ZL15dequantize_q4_0PKvliR15HIP_vector_typeIfLj2EEEEfEvS1_PKiPT2_llS2_IjLj3EEmmmmmmmmm
                                        ; -- End function
	.set _ZL10k_get_rowsILi32ELi2EXadL_ZL15dequantize_q4_0PKvliR15HIP_vector_typeIfLj2EEEEfEvS1_PKiPT2_llS2_IjLj3EEmmmmmmmmm.num_vgpr, 19
	.set _ZL10k_get_rowsILi32ELi2EXadL_ZL15dequantize_q4_0PKvliR15HIP_vector_typeIfLj2EEEEfEvS1_PKiPT2_llS2_IjLj3EEmmmmmmmmm.num_agpr, 0
	.set _ZL10k_get_rowsILi32ELi2EXadL_ZL15dequantize_q4_0PKvliR15HIP_vector_typeIfLj2EEEEfEvS1_PKiPT2_llS2_IjLj3EEmmmmmmmmm.numbered_sgpr, 48
	.set _ZL10k_get_rowsILi32ELi2EXadL_ZL15dequantize_q4_0PKvliR15HIP_vector_typeIfLj2EEEEfEvS1_PKiPT2_llS2_IjLj3EEmmmmmmmmm.num_named_barrier, 0
	.set _ZL10k_get_rowsILi32ELi2EXadL_ZL15dequantize_q4_0PKvliR15HIP_vector_typeIfLj2EEEEfEvS1_PKiPT2_llS2_IjLj3EEmmmmmmmmm.private_seg_size, 0
	.set _ZL10k_get_rowsILi32ELi2EXadL_ZL15dequantize_q4_0PKvliR15HIP_vector_typeIfLj2EEEEfEvS1_PKiPT2_llS2_IjLj3EEmmmmmmmmm.uses_vcc, 1
	.set _ZL10k_get_rowsILi32ELi2EXadL_ZL15dequantize_q4_0PKvliR15HIP_vector_typeIfLj2EEEEfEvS1_PKiPT2_llS2_IjLj3EEmmmmmmmmm.uses_flat_scratch, 0
	.set _ZL10k_get_rowsILi32ELi2EXadL_ZL15dequantize_q4_0PKvliR15HIP_vector_typeIfLj2EEEEfEvS1_PKiPT2_llS2_IjLj3EEmmmmmmmmm.has_dyn_sized_stack, 0
	.set _ZL10k_get_rowsILi32ELi2EXadL_ZL15dequantize_q4_0PKvliR15HIP_vector_typeIfLj2EEEEfEvS1_PKiPT2_llS2_IjLj3EEmmmmmmmmm.has_recursion, 0
	.set _ZL10k_get_rowsILi32ELi2EXadL_ZL15dequantize_q4_0PKvliR15HIP_vector_typeIfLj2EEEEfEvS1_PKiPT2_llS2_IjLj3EEmmmmmmmmm.has_indirect_call, 0
	.section	.AMDGPU.csdata,"",@progbits
; Kernel info:
; codeLenInByte = 784
; TotalNumSgprs: 52
; NumVgprs: 19
; ScratchSize: 0
; MemoryBound: 0
; FloatMode: 240
; IeeeMode: 1
; LDSByteSize: 0 bytes/workgroup (compile time only)
; SGPRBlocks: 6
; VGPRBlocks: 4
; NumSGPRsForWavesPerEU: 52
; NumVGPRsForWavesPerEU: 19
; Occupancy: 10
; WaveLimiterHint : 1
; COMPUTE_PGM_RSRC2:SCRATCH_EN: 0
; COMPUTE_PGM_RSRC2:USER_SGPR: 6
; COMPUTE_PGM_RSRC2:TRAP_HANDLER: 0
; COMPUTE_PGM_RSRC2:TGID_X_EN: 1
; COMPUTE_PGM_RSRC2:TGID_Y_EN: 1
; COMPUTE_PGM_RSRC2:TGID_Z_EN: 1
; COMPUTE_PGM_RSRC2:TIDIG_COMP_CNT: 0
	.section	.text._ZL10k_get_rowsILi32ELi2EXadL_ZL15dequantize_q4_1PKvliR15HIP_vector_typeIfLj2EEEEfEvS1_PKiPT2_llS2_IjLj3EEmmmmmmmmm,"axG",@progbits,_ZL10k_get_rowsILi32ELi2EXadL_ZL15dequantize_q4_1PKvliR15HIP_vector_typeIfLj2EEEEfEvS1_PKiPT2_llS2_IjLj3EEmmmmmmmmm,comdat
	.globl	_ZL10k_get_rowsILi32ELi2EXadL_ZL15dequantize_q4_1PKvliR15HIP_vector_typeIfLj2EEEEfEvS1_PKiPT2_llS2_IjLj3EEmmmmmmmmm ; -- Begin function _ZL10k_get_rowsILi32ELi2EXadL_ZL15dequantize_q4_1PKvliR15HIP_vector_typeIfLj2EEEEfEvS1_PKiPT2_llS2_IjLj3EEmmmmmmmmm
	.p2align	8
	.type	_ZL10k_get_rowsILi32ELi2EXadL_ZL15dequantize_q4_1PKvliR15HIP_vector_typeIfLj2EEEEfEvS1_PKiPT2_llS2_IjLj3EEmmmmmmmmm,@function
_ZL10k_get_rowsILi32ELi2EXadL_ZL15dequantize_q4_1PKvliR15HIP_vector_typeIfLj2EEEEfEvS1_PKiPT2_llS2_IjLj3EEmmmmmmmmm: ; @_ZL10k_get_rowsILi32ELi2EXadL_ZL15dequantize_q4_1PKvliR15HIP_vector_typeIfLj2EEEEfEvS1_PKiPT2_llS2_IjLj3EEmmmmmmmmm
; %bb.0:
	s_load_dwordx4 s[28:31], s[4:5], 0x18
	s_load_dwordx2 s[2:3], s[4:5], 0x2c
	s_mov_b32 s9, 0
	v_mov_b32_e32 v1, s8
	v_mov_b32_e32 v2, s9
	s_waitcnt lgkmcnt(0)
	s_mul_i32 s0, s31, s3
	s_mul_hi_u32 s1, s30, s3
	s_add_i32 s35, s1, s0
	s_mul_i32 s34, s30, s3
	v_cmp_le_i64_e32 vcc, s[34:35], v[1:2]
	s_cbranch_vccnz .LBB6_6
; %bb.1:
	s_load_dwordx4 s[36:39], s[4:5], 0x0
	s_load_dwordx2 s[42:43], s[4:5], 0x10
	s_load_dwordx2 s[10:11], s[4:5], 0x78
	;; [unrolled: 1-line block ×3, first 2 shown]
	s_load_dword s33, s[4:5], 0x28
	s_load_dwordx16 s[12:27], s[4:5], 0x38
	s_add_u32 s4, s4, 0x80
	s_addc_u32 s5, s5, 0
	s_waitcnt lgkmcnt(0)
	s_and_b32 s31, s31, 0xffff
	s_mul_i32 s7, s7, s31
	v_add_lshl_u32 v0, s7, v0, 1
	s_ashr_i32 s7, s6, 31
	s_mul_hi_u32 s40, s24, s6
	s_mul_i32 s41, s24, s7
	s_add_i32 s40, s40, s41
	s_mul_i32 s25, s25, s6
	s_add_i32 s25, s40, s25
	s_mul_i32 s24, s24, s6
	s_lshl_b64 s[24:25], s[24:25], 2
	s_add_u32 s40, s38, s24
	s_mul_hi_u32 s24, s12, s6
	s_mul_i32 s7, s12, s7
	s_addc_u32 s41, s39, s25
	s_add_i32 s7, s24, s7
	s_mul_i32 s13, s13, s6
	s_add_i32 s7, s7, s13
	s_mul_i32 s6, s12, s6
	v_mov_b32_e32 v1, 0
	s_lshl_b64 s[6:7], s[6:7], 2
	v_cmp_gt_i64_e64 s[0:1], s[28:29], v[0:1]
	s_add_u32 s42, s42, s6
	v_lshlrev_b64 v[2:3], 27, v[0:1]
	v_mov_b32_e32 v4, s34
	s_addc_u32 s43, s43, s7
	s_movk_i32 s44, 0xffe0
	v_mov_b32_e32 v5, s35
	s_mov_b64 s[6:7], s[8:9]
	s_branch .LBB6_3
.LBB6_2:                                ;   in Loop: Header=BB6_3 Depth=1
	s_or_b64 exec, exec, s[12:13]
	s_add_u32 s6, s6, s30
	s_addc_u32 s7, s7, 0
	v_cmp_ge_i64_e32 vcc, s[6:7], v[4:5]
	s_cbranch_vccnz .LBB6_6
.LBB6_3:                                ; =>This Loop Header: Depth=1
                                        ;     Child Loop BB6_5 Depth 2
	s_and_saveexec_b64 s[12:13], s[0:1]
	s_cbranch_execz .LBB6_2
; %bb.4:                                ;   in Loop: Header=BB6_3 Depth=1
	s_mul_hi_u32 s8, s6, s33
	s_add_i32 s8, s8, s6
	s_lshr_b32 s8, s8, s2
	s_mul_i32 s24, s8, s3
	s_sub_i32 s38, s6, s24
	s_ashr_i32 s39, s8, 31
	s_mul_i32 s24, s26, s39
	s_mul_hi_u32 s25, s26, s8
	s_ashr_i32 s46, s38, 31
	s_add_i32 s24, s25, s24
	s_mul_i32 s25, s27, s8
	s_mul_i32 s34, s10, s46
	s_mul_hi_u32 s35, s10, s38
	s_add_i32 s25, s24, s25
	s_mul_i32 s24, s26, s8
	s_add_i32 s34, s35, s34
	s_mul_i32 s35, s11, s38
	s_add_i32 s35, s34, s35
	s_lshl_b64 s[24:25], s[24:25], 2
	s_mul_i32 s34, s10, s38
	s_add_u32 s45, s40, s24
	s_addc_u32 s47, s41, s25
	s_lshl_b64 s[24:25], s[34:35], 2
	s_add_u32 s24, s45, s24
	s_addc_u32 s25, s47, s25
	s_load_dword s34, s[24:25], 0x0
	s_mul_i32 s24, s14, s39
	s_mul_hi_u32 s25, s14, s8
	s_add_i32 s24, s25, s24
	s_mul_i32 s25, s15, s8
	s_add_i32 s25, s24, s25
	s_mul_i32 s24, s14, s8
	s_waitcnt lgkmcnt(0)
	s_ashr_i32 s35, s34, 31
	s_lshl_b64 s[24:25], s[24:25], 2
	s_add_u32 s45, s42, s24
	s_addc_u32 s47, s43, s25
	s_mul_i32 s24, s16, s46
	s_mul_hi_u32 s25, s16, s38
	s_add_i32 s24, s25, s24
	s_mul_i32 s25, s17, s38
	s_add_i32 s25, s24, s25
	s_mul_i32 s24, s16, s38
	s_lshl_b64 s[24:25], s[24:25], 2
	s_add_u32 s45, s45, s24
	s_addc_u32 s47, s47, s25
	s_mul_i32 s24, s18, s35
	s_mul_hi_u32 s25, s18, s34
	s_add_i32 s24, s25, s24
	s_mul_i32 s25, s19, s34
	s_add_i32 s24, s24, s25
	s_mul_i32 s25, s18, s34
	s_add_u32 s25, s36, s25
	s_mul_i32 s34, s20, s39
	s_mul_hi_u32 s35, s20, s8
	s_addc_u32 s24, s37, s24
	s_add_i32 s34, s35, s34
	s_mul_i32 s35, s21, s8
	s_add_i32 s34, s34, s35
	s_mul_i32 s8, s20, s8
	s_load_dword s35, s[4:5], 0x4
	s_add_u32 s8, s25, s8
	s_addc_u32 s25, s24, s34
	s_mul_i32 s24, s22, s46
	s_mul_hi_u32 s34, s22, s38
	s_add_i32 s24, s34, s24
	s_mul_i32 s34, s23, s38
	s_add_i32 s34, s24, s34
	s_mul_i32 s24, s22, s38
	s_add_u32 s24, s8, s24
	s_waitcnt lgkmcnt(0)
	s_mul_i32 s8, s35, s31
	s_addc_u32 s25, s25, s34
	s_lshl_b64 s[34:35], s[8:9], 27
	v_mov_b32_e32 v7, v3
	v_mov_b32_e32 v9, v1
	s_mov_b64 s[38:39], 0
	v_mov_b32_e32 v10, s47
	v_mov_b32_e32 v11, s35
	;; [unrolled: 1-line block ×4, first 2 shown]
.LBB6_5:                                ;   Parent Loop BB6_3 Depth=1
                                        ; =>  This Inner Loop Header: Depth=2
	v_mad_i64_i32 v[12:13], s[46:47], v7, 20, s[24:25]
	v_bfe_u32 v16, v8, 1, 4
	v_add_co_u32_e32 v14, vcc, v12, v16
	v_addc_co_u32_e32 v15, vcc, 0, v13, vcc
	global_load_dword v17, v[12:13], off
	global_load_ubyte v18, v[14:15], off offset:4
	v_add_co_u32_e32 v6, vcc, s34, v6
	v_addc_co_u32_e32 v7, vcc, v7, v11, vcc
	v_and_or_b32 v12, v8, s44, v16
	v_add_co_u32_e32 v8, vcc, s8, v8
	v_addc_co_u32_e32 v9, vcc, 0, v9, vcc
	v_ashrrev_i32_e32 v13, 31, v12
	v_cmp_le_i64_e32 vcc, s[28:29], v[8:9]
	v_lshlrev_b64 v[12:13], 2, v[12:13]
	s_or_b64 s[38:39], vcc, s[38:39]
	v_add_co_u32_e32 v12, vcc, s45, v12
	v_addc_co_u32_e32 v13, vcc, v10, v13, vcc
	s_waitcnt vmcnt(0)
	v_and_b32_e32 v14, 15, v18
	v_lshrrev_b32_e32 v15, 4, v18
	v_cvt_f32_ubyte0_e32 v14, v14
	v_cvt_f32_ubyte0_e32 v15, v15
	v_fma_mix_f32 v14, v17, v14, v17 op_sel:[0,0,1] op_sel_hi:[1,0,1]
	v_fma_mix_f32 v15, v17, v15, v17 op_sel:[0,0,1] op_sel_hi:[1,0,1]
	global_store_dword v[12:13], v14, off
	global_store_dword v[12:13], v15, off offset:64
	s_andn2_b64 exec, exec, s[38:39]
	s_cbranch_execnz .LBB6_5
	s_branch .LBB6_2
.LBB6_6:
	s_endpgm
	.section	.rodata,"a",@progbits
	.p2align	6, 0x0
	.amdhsa_kernel _ZL10k_get_rowsILi32ELi2EXadL_ZL15dequantize_q4_1PKvliR15HIP_vector_typeIfLj2EEEEfEvS1_PKiPT2_llS2_IjLj3EEmmmmmmmmm
		.amdhsa_group_segment_fixed_size 0
		.amdhsa_private_segment_fixed_size 0
		.amdhsa_kernarg_size 384
		.amdhsa_user_sgpr_count 6
		.amdhsa_user_sgpr_private_segment_buffer 1
		.amdhsa_user_sgpr_dispatch_ptr 0
		.amdhsa_user_sgpr_queue_ptr 0
		.amdhsa_user_sgpr_kernarg_segment_ptr 1
		.amdhsa_user_sgpr_dispatch_id 0
		.amdhsa_user_sgpr_flat_scratch_init 0
		.amdhsa_user_sgpr_private_segment_size 0
		.amdhsa_uses_dynamic_stack 0
		.amdhsa_system_sgpr_private_segment_wavefront_offset 0
		.amdhsa_system_sgpr_workgroup_id_x 1
		.amdhsa_system_sgpr_workgroup_id_y 1
		.amdhsa_system_sgpr_workgroup_id_z 1
		.amdhsa_system_sgpr_workgroup_info 0
		.amdhsa_system_vgpr_workitem_id 0
		.amdhsa_next_free_vgpr 19
		.amdhsa_next_free_sgpr 48
		.amdhsa_reserve_vcc 1
		.amdhsa_reserve_flat_scratch 0
		.amdhsa_float_round_mode_32 0
		.amdhsa_float_round_mode_16_64 0
		.amdhsa_float_denorm_mode_32 3
		.amdhsa_float_denorm_mode_16_64 3
		.amdhsa_dx10_clamp 1
		.amdhsa_ieee_mode 1
		.amdhsa_fp16_overflow 0
		.amdhsa_exception_fp_ieee_invalid_op 0
		.amdhsa_exception_fp_denorm_src 0
		.amdhsa_exception_fp_ieee_div_zero 0
		.amdhsa_exception_fp_ieee_overflow 0
		.amdhsa_exception_fp_ieee_underflow 0
		.amdhsa_exception_fp_ieee_inexact 0
		.amdhsa_exception_int_div_zero 0
	.end_amdhsa_kernel
	.section	.text._ZL10k_get_rowsILi32ELi2EXadL_ZL15dequantize_q4_1PKvliR15HIP_vector_typeIfLj2EEEEfEvS1_PKiPT2_llS2_IjLj3EEmmmmmmmmm,"axG",@progbits,_ZL10k_get_rowsILi32ELi2EXadL_ZL15dequantize_q4_1PKvliR15HIP_vector_typeIfLj2EEEEfEvS1_PKiPT2_llS2_IjLj3EEmmmmmmmmm,comdat
.Lfunc_end6:
	.size	_ZL10k_get_rowsILi32ELi2EXadL_ZL15dequantize_q4_1PKvliR15HIP_vector_typeIfLj2EEEEfEvS1_PKiPT2_llS2_IjLj3EEmmmmmmmmm, .Lfunc_end6-_ZL10k_get_rowsILi32ELi2EXadL_ZL15dequantize_q4_1PKvliR15HIP_vector_typeIfLj2EEEEfEvS1_PKiPT2_llS2_IjLj3EEmmmmmmmmm
                                        ; -- End function
	.set _ZL10k_get_rowsILi32ELi2EXadL_ZL15dequantize_q4_1PKvliR15HIP_vector_typeIfLj2EEEEfEvS1_PKiPT2_llS2_IjLj3EEmmmmmmmmm.num_vgpr, 19
	.set _ZL10k_get_rowsILi32ELi2EXadL_ZL15dequantize_q4_1PKvliR15HIP_vector_typeIfLj2EEEEfEvS1_PKiPT2_llS2_IjLj3EEmmmmmmmmm.num_agpr, 0
	.set _ZL10k_get_rowsILi32ELi2EXadL_ZL15dequantize_q4_1PKvliR15HIP_vector_typeIfLj2EEEEfEvS1_PKiPT2_llS2_IjLj3EEmmmmmmmmm.numbered_sgpr, 48
	.set _ZL10k_get_rowsILi32ELi2EXadL_ZL15dequantize_q4_1PKvliR15HIP_vector_typeIfLj2EEEEfEvS1_PKiPT2_llS2_IjLj3EEmmmmmmmmm.num_named_barrier, 0
	.set _ZL10k_get_rowsILi32ELi2EXadL_ZL15dequantize_q4_1PKvliR15HIP_vector_typeIfLj2EEEEfEvS1_PKiPT2_llS2_IjLj3EEmmmmmmmmm.private_seg_size, 0
	.set _ZL10k_get_rowsILi32ELi2EXadL_ZL15dequantize_q4_1PKvliR15HIP_vector_typeIfLj2EEEEfEvS1_PKiPT2_llS2_IjLj3EEmmmmmmmmm.uses_vcc, 1
	.set _ZL10k_get_rowsILi32ELi2EXadL_ZL15dequantize_q4_1PKvliR15HIP_vector_typeIfLj2EEEEfEvS1_PKiPT2_llS2_IjLj3EEmmmmmmmmm.uses_flat_scratch, 0
	.set _ZL10k_get_rowsILi32ELi2EXadL_ZL15dequantize_q4_1PKvliR15HIP_vector_typeIfLj2EEEEfEvS1_PKiPT2_llS2_IjLj3EEmmmmmmmmm.has_dyn_sized_stack, 0
	.set _ZL10k_get_rowsILi32ELi2EXadL_ZL15dequantize_q4_1PKvliR15HIP_vector_typeIfLj2EEEEfEvS1_PKiPT2_llS2_IjLj3EEmmmmmmmmm.has_recursion, 0
	.set _ZL10k_get_rowsILi32ELi2EXadL_ZL15dequantize_q4_1PKvliR15HIP_vector_typeIfLj2EEEEfEvS1_PKiPT2_llS2_IjLj3EEmmmmmmmmm.has_indirect_call, 0
	.section	.AMDGPU.csdata,"",@progbits
; Kernel info:
; codeLenInByte = 776
; TotalNumSgprs: 52
; NumVgprs: 19
; ScratchSize: 0
; MemoryBound: 0
; FloatMode: 240
; IeeeMode: 1
; LDSByteSize: 0 bytes/workgroup (compile time only)
; SGPRBlocks: 6
; VGPRBlocks: 4
; NumSGPRsForWavesPerEU: 52
; NumVGPRsForWavesPerEU: 19
; Occupancy: 10
; WaveLimiterHint : 1
; COMPUTE_PGM_RSRC2:SCRATCH_EN: 0
; COMPUTE_PGM_RSRC2:USER_SGPR: 6
; COMPUTE_PGM_RSRC2:TRAP_HANDLER: 0
; COMPUTE_PGM_RSRC2:TGID_X_EN: 1
; COMPUTE_PGM_RSRC2:TGID_Y_EN: 1
; COMPUTE_PGM_RSRC2:TGID_Z_EN: 1
; COMPUTE_PGM_RSRC2:TIDIG_COMP_CNT: 0
	.section	.text._ZL10k_get_rowsILi32ELi2EXadL_ZL15dequantize_q5_0PKvliR15HIP_vector_typeIfLj2EEEEfEvS1_PKiPT2_llS2_IjLj3EEmmmmmmmmm,"axG",@progbits,_ZL10k_get_rowsILi32ELi2EXadL_ZL15dequantize_q5_0PKvliR15HIP_vector_typeIfLj2EEEEfEvS1_PKiPT2_llS2_IjLj3EEmmmmmmmmm,comdat
	.globl	_ZL10k_get_rowsILi32ELi2EXadL_ZL15dequantize_q5_0PKvliR15HIP_vector_typeIfLj2EEEEfEvS1_PKiPT2_llS2_IjLj3EEmmmmmmmmm ; -- Begin function _ZL10k_get_rowsILi32ELi2EXadL_ZL15dequantize_q5_0PKvliR15HIP_vector_typeIfLj2EEEEfEvS1_PKiPT2_llS2_IjLj3EEmmmmmmmmm
	.p2align	8
	.type	_ZL10k_get_rowsILi32ELi2EXadL_ZL15dequantize_q5_0PKvliR15HIP_vector_typeIfLj2EEEEfEvS1_PKiPT2_llS2_IjLj3EEmmmmmmmmm,@function
_ZL10k_get_rowsILi32ELi2EXadL_ZL15dequantize_q5_0PKvliR15HIP_vector_typeIfLj2EEEEfEvS1_PKiPT2_llS2_IjLj3EEmmmmmmmmm: ; @_ZL10k_get_rowsILi32ELi2EXadL_ZL15dequantize_q5_0PKvliR15HIP_vector_typeIfLj2EEEEfEvS1_PKiPT2_llS2_IjLj3EEmmmmmmmmm
; %bb.0:
	s_load_dwordx4 s[28:31], s[4:5], 0x18
	s_load_dwordx2 s[2:3], s[4:5], 0x2c
	s_mov_b32 s9, 0
	v_mov_b32_e32 v1, s8
	v_mov_b32_e32 v2, s9
	s_waitcnt lgkmcnt(0)
	s_mul_i32 s0, s31, s3
	s_mul_hi_u32 s1, s30, s3
	s_add_i32 s11, s1, s0
	s_mul_i32 s10, s30, s3
	v_cmp_le_i64_e32 vcc, s[10:11], v[1:2]
	s_cbranch_vccnz .LBB7_6
; %bb.1:
	s_load_dwordx4 s[36:39], s[4:5], 0x0
	s_load_dwordx2 s[40:41], s[4:5], 0x10
	s_load_dwordx2 s[30:31], s[4:5], 0x78
	;; [unrolled: 1-line block ×3, first 2 shown]
	s_load_dword s33, s[4:5], 0x28
	s_load_dwordx16 s[12:27], s[4:5], 0x38
	s_add_u32 s4, s4, 0x80
	s_addc_u32 s5, s5, 0
	s_waitcnt lgkmcnt(0)
	s_and_b32 s35, s35, 0xffff
	s_mul_i32 s7, s7, s35
	v_add_lshl_u32 v0, s7, v0, 1
	s_ashr_i32 s7, s6, 31
	s_mul_hi_u32 s42, s24, s6
	s_mul_i32 s43, s24, s7
	s_add_i32 s42, s42, s43
	s_mul_i32 s25, s25, s6
	s_add_i32 s25, s42, s25
	s_mul_i32 s24, s24, s6
	s_lshl_b64 s[24:25], s[24:25], 2
	s_add_u32 s42, s38, s24
	s_mul_hi_u32 s24, s12, s6
	s_mul_i32 s7, s12, s7
	s_addc_u32 s43, s39, s25
	s_add_i32 s7, s24, s7
	s_mul_i32 s13, s13, s6
	s_add_i32 s7, s7, s13
	s_mul_i32 s6, s12, s6
	v_mov_b32_e32 v1, 0
	s_lshl_b64 s[6:7], s[6:7], 2
	v_cmp_gt_i64_e64 s[0:1], s[28:29], v[0:1]
	s_add_u32 s44, s40, s6
	v_lshlrev_b64 v[2:3], 27, v[0:1]
	s_addc_u32 s45, s41, s7
	s_mov_b32 s46, 0x1000706
	s_movk_i32 s47, 0xffe0
	s_mov_b64 s[6:7], s[8:9]
	s_branch .LBB7_3
.LBB7_2:                                ;   in Loop: Header=BB7_3 Depth=1
	s_or_b64 exec, exec, s[12:13]
	s_add_u32 s6, s6, s34
	v_mov_b32_e32 v4, s10
	s_addc_u32 s7, s7, 0
	v_mov_b32_e32 v5, s11
	v_cmp_ge_i64_e32 vcc, s[6:7], v[4:5]
	s_cbranch_vccnz .LBB7_6
.LBB7_3:                                ; =>This Loop Header: Depth=1
                                        ;     Child Loop BB7_5 Depth 2
	s_and_saveexec_b64 s[12:13], s[0:1]
	s_cbranch_execz .LBB7_2
; %bb.4:                                ;   in Loop: Header=BB7_3 Depth=1
	s_mul_hi_u32 s8, s6, s33
	s_add_i32 s8, s8, s6
	s_lshr_b32 s8, s8, s2
	s_mul_i32 s24, s8, s3
	s_sub_i32 s40, s6, s24
	s_ashr_i32 s41, s8, 31
	s_mul_i32 s24, s26, s41
	s_mul_hi_u32 s25, s26, s8
	s_ashr_i32 s49, s40, 31
	s_add_i32 s24, s25, s24
	s_mul_i32 s25, s27, s8
	s_mul_i32 s38, s30, s49
	s_mul_hi_u32 s39, s30, s40
	s_add_i32 s25, s24, s25
	s_mul_i32 s24, s26, s8
	s_add_i32 s38, s39, s38
	s_mul_i32 s39, s31, s40
	s_add_i32 s39, s38, s39
	s_lshl_b64 s[24:25], s[24:25], 2
	s_mul_i32 s38, s30, s40
	s_add_u32 s48, s42, s24
	s_addc_u32 s50, s43, s25
	s_lshl_b64 s[24:25], s[38:39], 2
	s_add_u32 s24, s48, s24
	s_addc_u32 s25, s50, s25
	s_load_dword s38, s[24:25], 0x0
	s_mul_i32 s24, s14, s41
	s_mul_hi_u32 s25, s14, s8
	s_add_i32 s24, s25, s24
	s_mul_i32 s25, s15, s8
	s_add_i32 s25, s24, s25
	s_mul_i32 s24, s14, s8
	s_waitcnt lgkmcnt(0)
	s_ashr_i32 s39, s38, 31
	s_lshl_b64 s[24:25], s[24:25], 2
	s_add_u32 s48, s44, s24
	s_addc_u32 s50, s45, s25
	s_mul_i32 s24, s16, s49
	s_mul_hi_u32 s25, s16, s40
	s_add_i32 s24, s25, s24
	s_mul_i32 s25, s17, s40
	s_add_i32 s25, s24, s25
	s_mul_i32 s24, s16, s40
	s_lshl_b64 s[24:25], s[24:25], 2
	s_add_u32 s48, s48, s24
	s_addc_u32 s50, s50, s25
	s_mul_i32 s24, s18, s39
	s_mul_hi_u32 s25, s18, s38
	s_add_i32 s24, s25, s24
	s_mul_i32 s25, s19, s38
	s_add_i32 s24, s24, s25
	s_mul_i32 s25, s18, s38
	s_add_u32 s25, s36, s25
	s_mul_i32 s38, s20, s41
	s_mul_hi_u32 s39, s20, s8
	s_addc_u32 s24, s37, s24
	s_add_i32 s38, s39, s38
	s_mul_i32 s39, s21, s8
	s_add_i32 s38, s38, s39
	s_mul_i32 s8, s20, s8
	s_load_dword s39, s[4:5], 0x4
	s_add_u32 s8, s25, s8
	s_addc_u32 s25, s24, s38
	s_mul_i32 s24, s22, s49
	s_mul_hi_u32 s38, s22, s40
	s_add_i32 s24, s38, s24
	s_mul_i32 s38, s23, s40
	s_add_i32 s38, s24, s38
	s_mul_i32 s24, s22, s40
	s_add_u32 s24, s8, s24
	s_waitcnt lgkmcnt(0)
	s_mul_i32 s8, s39, s35
	s_addc_u32 s25, s25, s38
	s_lshl_b64 s[38:39], s[8:9], 27
	v_mov_b32_e32 v5, v3
	v_mov_b32_e32 v7, v1
	s_mov_b64 s[40:41], 0
	v_mov_b32_e32 v8, s50
	v_mov_b32_e32 v9, s39
	;; [unrolled: 1-line block ×4, first 2 shown]
.LBB7_5:                                ;   Parent Loop BB7_3 Depth=1
                                        ; =>  This Inner Loop Header: Depth=2
	v_mad_i64_i32 v[10:11], s[50:51], v5, 22, s[24:25]
	v_bfe_u32 v12, v6, 1, 4
	v_add_u32_e32 v16, 12, v12
	global_load_dword v13, v[10:11], off
	global_load_ushort v14, v[10:11], off offset:4
	v_add_co_u32_e32 v10, vcc, v10, v12
	v_addc_co_u32_e32 v11, vcc, 0, v11, vcc
	global_load_ubyte v15, v[10:11], off offset:6
	v_add_co_u32_e32 v4, vcc, s38, v4
	v_and_or_b32 v10, v6, s47, v12
	v_addc_co_u32_e32 v5, vcc, v5, v9, vcc
	v_add_co_u32_e32 v6, vcc, s8, v6
	v_addc_co_u32_e32 v7, vcc, 0, v7, vcc
	v_ashrrev_i32_e32 v11, 31, v10
	v_cmp_le_i64_e32 vcc, s[28:29], v[6:7]
	v_lshlrev_b64 v[10:11], 2, v[10:11]
	s_or_b64 s[40:41], vcc, s[40:41]
	v_add_co_u32_e32 v10, vcc, s48, v10
	v_addc_co_u32_e32 v11, vcc, v8, v11, vcc
	s_waitcnt vmcnt(2)
	v_cvt_f32_f16_e32 v17, v13
	s_waitcnt vmcnt(1)
	v_perm_b32 v13, v13, v14, s46
	v_lshrrev_b32_e32 v12, v12, v13
	v_lshrrev_b32_e32 v13, v16, v13
	v_lshlrev_b32_e32 v12, 4, v12
	v_and_b32_e32 v13, 16, v13
	s_waitcnt vmcnt(0)
	v_lshrrev_b16_e32 v14, 4, v15
	v_or_b32_e32 v14, -16, v14
	v_or_b32_e32 v15, -16, v15
	v_and_b32_e32 v12, 16, v12
	v_add_u32_sdwa v13, v13, sext(v14) dst_sel:DWORD dst_unused:UNUSED_PAD src0_sel:DWORD src1_sel:WORD_0
	v_add_u32_e32 v12, v15, v12
	v_cvt_f32_i32_e32 v13, v13
	v_cvt_f32_i32_e32 v12, v12
	v_mul_f32_e32 v13, v17, v13
	v_mul_f32_e32 v12, v17, v12
	global_store_dword v[10:11], v13, off offset:64
	global_store_dword v[10:11], v12, off
	s_andn2_b64 exec, exec, s[40:41]
	s_cbranch_execnz .LBB7_5
	s_branch .LBB7_2
.LBB7_6:
	s_endpgm
	.section	.rodata,"a",@progbits
	.p2align	6, 0x0
	.amdhsa_kernel _ZL10k_get_rowsILi32ELi2EXadL_ZL15dequantize_q5_0PKvliR15HIP_vector_typeIfLj2EEEEfEvS1_PKiPT2_llS2_IjLj3EEmmmmmmmmm
		.amdhsa_group_segment_fixed_size 0
		.amdhsa_private_segment_fixed_size 0
		.amdhsa_kernarg_size 384
		.amdhsa_user_sgpr_count 6
		.amdhsa_user_sgpr_private_segment_buffer 1
		.amdhsa_user_sgpr_dispatch_ptr 0
		.amdhsa_user_sgpr_queue_ptr 0
		.amdhsa_user_sgpr_kernarg_segment_ptr 1
		.amdhsa_user_sgpr_dispatch_id 0
		.amdhsa_user_sgpr_flat_scratch_init 0
		.amdhsa_user_sgpr_private_segment_size 0
		.amdhsa_uses_dynamic_stack 0
		.amdhsa_system_sgpr_private_segment_wavefront_offset 0
		.amdhsa_system_sgpr_workgroup_id_x 1
		.amdhsa_system_sgpr_workgroup_id_y 1
		.amdhsa_system_sgpr_workgroup_id_z 1
		.amdhsa_system_sgpr_workgroup_info 0
		.amdhsa_system_vgpr_workitem_id 0
		.amdhsa_next_free_vgpr 18
		.amdhsa_next_free_sgpr 52
		.amdhsa_reserve_vcc 1
		.amdhsa_reserve_flat_scratch 0
		.amdhsa_float_round_mode_32 0
		.amdhsa_float_round_mode_16_64 0
		.amdhsa_float_denorm_mode_32 3
		.amdhsa_float_denorm_mode_16_64 3
		.amdhsa_dx10_clamp 1
		.amdhsa_ieee_mode 1
		.amdhsa_fp16_overflow 0
		.amdhsa_exception_fp_ieee_invalid_op 0
		.amdhsa_exception_fp_denorm_src 0
		.amdhsa_exception_fp_ieee_div_zero 0
		.amdhsa_exception_fp_ieee_overflow 0
		.amdhsa_exception_fp_ieee_underflow 0
		.amdhsa_exception_fp_ieee_inexact 0
		.amdhsa_exception_int_div_zero 0
	.end_amdhsa_kernel
	.section	.text._ZL10k_get_rowsILi32ELi2EXadL_ZL15dequantize_q5_0PKvliR15HIP_vector_typeIfLj2EEEEfEvS1_PKiPT2_llS2_IjLj3EEmmmmmmmmm,"axG",@progbits,_ZL10k_get_rowsILi32ELi2EXadL_ZL15dequantize_q5_0PKvliR15HIP_vector_typeIfLj2EEEEfEvS1_PKiPT2_llS2_IjLj3EEmmmmmmmmm,comdat
.Lfunc_end7:
	.size	_ZL10k_get_rowsILi32ELi2EXadL_ZL15dequantize_q5_0PKvliR15HIP_vector_typeIfLj2EEEEfEvS1_PKiPT2_llS2_IjLj3EEmmmmmmmmm, .Lfunc_end7-_ZL10k_get_rowsILi32ELi2EXadL_ZL15dequantize_q5_0PKvliR15HIP_vector_typeIfLj2EEEEfEvS1_PKiPT2_llS2_IjLj3EEmmmmmmmmm
                                        ; -- End function
	.set _ZL10k_get_rowsILi32ELi2EXadL_ZL15dequantize_q5_0PKvliR15HIP_vector_typeIfLj2EEEEfEvS1_PKiPT2_llS2_IjLj3EEmmmmmmmmm.num_vgpr, 18
	.set _ZL10k_get_rowsILi32ELi2EXadL_ZL15dequantize_q5_0PKvliR15HIP_vector_typeIfLj2EEEEfEvS1_PKiPT2_llS2_IjLj3EEmmmmmmmmm.num_agpr, 0
	.set _ZL10k_get_rowsILi32ELi2EXadL_ZL15dequantize_q5_0PKvliR15HIP_vector_typeIfLj2EEEEfEvS1_PKiPT2_llS2_IjLj3EEmmmmmmmmm.numbered_sgpr, 52
	.set _ZL10k_get_rowsILi32ELi2EXadL_ZL15dequantize_q5_0PKvliR15HIP_vector_typeIfLj2EEEEfEvS1_PKiPT2_llS2_IjLj3EEmmmmmmmmm.num_named_barrier, 0
	.set _ZL10k_get_rowsILi32ELi2EXadL_ZL15dequantize_q5_0PKvliR15HIP_vector_typeIfLj2EEEEfEvS1_PKiPT2_llS2_IjLj3EEmmmmmmmmm.private_seg_size, 0
	.set _ZL10k_get_rowsILi32ELi2EXadL_ZL15dequantize_q5_0PKvliR15HIP_vector_typeIfLj2EEEEfEvS1_PKiPT2_llS2_IjLj3EEmmmmmmmmm.uses_vcc, 1
	.set _ZL10k_get_rowsILi32ELi2EXadL_ZL15dequantize_q5_0PKvliR15HIP_vector_typeIfLj2EEEEfEvS1_PKiPT2_llS2_IjLj3EEmmmmmmmmm.uses_flat_scratch, 0
	.set _ZL10k_get_rowsILi32ELi2EXadL_ZL15dequantize_q5_0PKvliR15HIP_vector_typeIfLj2EEEEfEvS1_PKiPT2_llS2_IjLj3EEmmmmmmmmm.has_dyn_sized_stack, 0
	.set _ZL10k_get_rowsILi32ELi2EXadL_ZL15dequantize_q5_0PKvliR15HIP_vector_typeIfLj2EEEEfEvS1_PKiPT2_llS2_IjLj3EEmmmmmmmmm.has_recursion, 0
	.set _ZL10k_get_rowsILi32ELi2EXadL_ZL15dequantize_q5_0PKvliR15HIP_vector_typeIfLj2EEEEfEvS1_PKiPT2_llS2_IjLj3EEmmmmmmmmm.has_indirect_call, 0
	.section	.AMDGPU.csdata,"",@progbits
; Kernel info:
; codeLenInByte = 844
; TotalNumSgprs: 56
; NumVgprs: 18
; ScratchSize: 0
; MemoryBound: 0
; FloatMode: 240
; IeeeMode: 1
; LDSByteSize: 0 bytes/workgroup (compile time only)
; SGPRBlocks: 6
; VGPRBlocks: 4
; NumSGPRsForWavesPerEU: 56
; NumVGPRsForWavesPerEU: 18
; Occupancy: 10
; WaveLimiterHint : 1
; COMPUTE_PGM_RSRC2:SCRATCH_EN: 0
; COMPUTE_PGM_RSRC2:USER_SGPR: 6
; COMPUTE_PGM_RSRC2:TRAP_HANDLER: 0
; COMPUTE_PGM_RSRC2:TGID_X_EN: 1
; COMPUTE_PGM_RSRC2:TGID_Y_EN: 1
; COMPUTE_PGM_RSRC2:TGID_Z_EN: 1
; COMPUTE_PGM_RSRC2:TIDIG_COMP_CNT: 0
	.section	.text._ZL10k_get_rowsILi32ELi2EXadL_ZL15dequantize_q5_1PKvliR15HIP_vector_typeIfLj2EEEEfEvS1_PKiPT2_llS2_IjLj3EEmmmmmmmmm,"axG",@progbits,_ZL10k_get_rowsILi32ELi2EXadL_ZL15dequantize_q5_1PKvliR15HIP_vector_typeIfLj2EEEEfEvS1_PKiPT2_llS2_IjLj3EEmmmmmmmmm,comdat
	.globl	_ZL10k_get_rowsILi32ELi2EXadL_ZL15dequantize_q5_1PKvliR15HIP_vector_typeIfLj2EEEEfEvS1_PKiPT2_llS2_IjLj3EEmmmmmmmmm ; -- Begin function _ZL10k_get_rowsILi32ELi2EXadL_ZL15dequantize_q5_1PKvliR15HIP_vector_typeIfLj2EEEEfEvS1_PKiPT2_llS2_IjLj3EEmmmmmmmmm
	.p2align	8
	.type	_ZL10k_get_rowsILi32ELi2EXadL_ZL15dequantize_q5_1PKvliR15HIP_vector_typeIfLj2EEEEfEvS1_PKiPT2_llS2_IjLj3EEmmmmmmmmm,@function
_ZL10k_get_rowsILi32ELi2EXadL_ZL15dequantize_q5_1PKvliR15HIP_vector_typeIfLj2EEEEfEvS1_PKiPT2_llS2_IjLj3EEmmmmmmmmm: ; @_ZL10k_get_rowsILi32ELi2EXadL_ZL15dequantize_q5_1PKvliR15HIP_vector_typeIfLj2EEEEfEvS1_PKiPT2_llS2_IjLj3EEmmmmmmmmm
; %bb.0:
	s_load_dwordx4 s[28:31], s[4:5], 0x18
	s_load_dwordx2 s[2:3], s[4:5], 0x2c
	s_mov_b32 s9, 0
	v_mov_b32_e32 v1, s8
	v_mov_b32_e32 v2, s9
	s_waitcnt lgkmcnt(0)
	s_mul_i32 s0, s31, s3
	s_mul_hi_u32 s1, s30, s3
	s_add_i32 s35, s1, s0
	s_mul_i32 s34, s30, s3
	v_cmp_le_i64_e32 vcc, s[34:35], v[1:2]
	s_cbranch_vccnz .LBB8_6
; %bb.1:
	s_load_dwordx4 s[36:39], s[4:5], 0x0
	s_load_dwordx2 s[42:43], s[4:5], 0x10
	s_load_dwordx2 s[10:11], s[4:5], 0x78
	;; [unrolled: 1-line block ×3, first 2 shown]
	s_load_dword s33, s[4:5], 0x28
	s_load_dwordx16 s[12:27], s[4:5], 0x38
	s_add_u32 s4, s4, 0x80
	s_addc_u32 s5, s5, 0
	s_waitcnt lgkmcnt(0)
	s_and_b32 s31, s31, 0xffff
	s_mul_i32 s7, s7, s31
	v_add_lshl_u32 v0, s7, v0, 1
	s_ashr_i32 s7, s6, 31
	s_mul_hi_u32 s40, s24, s6
	s_mul_i32 s41, s24, s7
	s_add_i32 s40, s40, s41
	s_mul_i32 s25, s25, s6
	s_add_i32 s25, s40, s25
	s_mul_i32 s24, s24, s6
	s_lshl_b64 s[24:25], s[24:25], 2
	s_add_u32 s40, s38, s24
	s_mul_hi_u32 s24, s12, s6
	s_mul_i32 s7, s12, s7
	s_addc_u32 s41, s39, s25
	s_add_i32 s7, s24, s7
	s_mul_i32 s13, s13, s6
	s_add_i32 s7, s7, s13
	s_mul_i32 s6, s12, s6
	v_mov_b32_e32 v1, 0
	s_lshl_b64 s[6:7], s[6:7], 2
	v_cmp_gt_i64_e64 s[0:1], s[28:29], v[0:1]
	s_add_u32 s42, s42, s6
	v_lshlrev_b64 v[2:3], 27, v[0:1]
	v_mov_b32_e32 v4, s34
	s_addc_u32 s43, s43, s7
	s_movk_i32 s44, 0xffe0
	v_mov_b32_e32 v5, s35
	s_mov_b64 s[6:7], s[8:9]
	s_branch .LBB8_3
.LBB8_2:                                ;   in Loop: Header=BB8_3 Depth=1
	s_or_b64 exec, exec, s[12:13]
	s_add_u32 s6, s6, s30
	s_addc_u32 s7, s7, 0
	v_cmp_ge_i64_e32 vcc, s[6:7], v[4:5]
	s_cbranch_vccnz .LBB8_6
.LBB8_3:                                ; =>This Loop Header: Depth=1
                                        ;     Child Loop BB8_5 Depth 2
	s_and_saveexec_b64 s[12:13], s[0:1]
	s_cbranch_execz .LBB8_2
; %bb.4:                                ;   in Loop: Header=BB8_3 Depth=1
	s_mul_hi_u32 s8, s6, s33
	s_add_i32 s8, s8, s6
	s_lshr_b32 s8, s8, s2
	s_mul_i32 s24, s8, s3
	s_sub_i32 s38, s6, s24
	s_ashr_i32 s39, s8, 31
	s_mul_i32 s24, s26, s39
	s_mul_hi_u32 s25, s26, s8
	s_ashr_i32 s46, s38, 31
	s_add_i32 s24, s25, s24
	s_mul_i32 s25, s27, s8
	s_mul_i32 s34, s10, s46
	s_mul_hi_u32 s35, s10, s38
	s_add_i32 s25, s24, s25
	s_mul_i32 s24, s26, s8
	s_add_i32 s34, s35, s34
	s_mul_i32 s35, s11, s38
	s_add_i32 s35, s34, s35
	s_lshl_b64 s[24:25], s[24:25], 2
	s_mul_i32 s34, s10, s38
	s_add_u32 s45, s40, s24
	s_addc_u32 s47, s41, s25
	s_lshl_b64 s[24:25], s[34:35], 2
	s_add_u32 s24, s45, s24
	s_addc_u32 s25, s47, s25
	s_load_dword s34, s[24:25], 0x0
	s_mul_i32 s24, s14, s39
	s_mul_hi_u32 s25, s14, s8
	s_add_i32 s24, s25, s24
	s_mul_i32 s25, s15, s8
	s_add_i32 s25, s24, s25
	s_mul_i32 s24, s14, s8
	s_waitcnt lgkmcnt(0)
	s_ashr_i32 s35, s34, 31
	s_lshl_b64 s[24:25], s[24:25], 2
	s_add_u32 s45, s42, s24
	s_addc_u32 s47, s43, s25
	s_mul_i32 s24, s16, s46
	s_mul_hi_u32 s25, s16, s38
	s_add_i32 s24, s25, s24
	s_mul_i32 s25, s17, s38
	s_add_i32 s25, s24, s25
	s_mul_i32 s24, s16, s38
	s_lshl_b64 s[24:25], s[24:25], 2
	s_add_u32 s45, s45, s24
	s_addc_u32 s47, s47, s25
	s_mul_i32 s24, s18, s35
	s_mul_hi_u32 s25, s18, s34
	s_add_i32 s24, s25, s24
	s_mul_i32 s25, s19, s34
	s_add_i32 s24, s24, s25
	s_mul_i32 s25, s18, s34
	s_add_u32 s25, s36, s25
	s_mul_i32 s34, s20, s39
	s_mul_hi_u32 s35, s20, s8
	s_addc_u32 s24, s37, s24
	s_add_i32 s34, s35, s34
	s_mul_i32 s35, s21, s8
	s_add_i32 s34, s34, s35
	s_mul_i32 s8, s20, s8
	s_load_dword s35, s[4:5], 0x4
	s_add_u32 s8, s25, s8
	s_addc_u32 s25, s24, s34
	s_mul_i32 s24, s22, s46
	s_mul_hi_u32 s34, s22, s38
	s_add_i32 s24, s34, s24
	s_mul_i32 s34, s23, s38
	s_add_i32 s34, s24, s34
	s_mul_i32 s24, s22, s38
	s_add_u32 s24, s8, s24
	s_waitcnt lgkmcnt(0)
	s_mul_i32 s8, s35, s31
	s_addc_u32 s25, s25, s34
	s_lshl_b64 s[34:35], s[8:9], 27
	v_mov_b32_e32 v7, v3
	v_mov_b32_e32 v9, v1
	s_mov_b64 s[38:39], 0
	v_mov_b32_e32 v10, s47
	v_mov_b32_e32 v11, s35
	;; [unrolled: 1-line block ×4, first 2 shown]
.LBB8_5:                                ;   Parent Loop BB8_3 Depth=1
                                        ; =>  This Inner Loop Header: Depth=2
	v_mad_i64_i32 v[12:13], s[46:47], v7, 24, s[24:25]
	v_bfe_u32 v16, v8, 1, 4
	v_add_u32_e32 v18, 12, v16
	global_load_dwordx2 v[14:15], v[12:13], off
	v_add_co_u32_e32 v12, vcc, v12, v16
	v_addc_co_u32_e32 v13, vcc, 0, v13, vcc
	global_load_ubyte v17, v[12:13], off offset:8
	v_add_co_u32_e32 v6, vcc, s34, v6
	v_addc_co_u32_e32 v7, vcc, v7, v11, vcc
	v_and_or_b32 v12, v8, s44, v16
	v_add_co_u32_e32 v8, vcc, s8, v8
	v_addc_co_u32_e32 v9, vcc, 0, v9, vcc
	v_ashrrev_i32_e32 v13, 31, v12
	v_cmp_le_i64_e32 vcc, s[28:29], v[8:9]
	v_lshlrev_b64 v[12:13], 2, v[12:13]
	s_or_b64 s[38:39], vcc, s[38:39]
	v_add_co_u32_e32 v12, vcc, s45, v12
	v_addc_co_u32_e32 v13, vcc, v10, v13, vcc
	s_waitcnt vmcnt(1)
	v_lshrrev_b32_e32 v16, v16, v15
	v_lshrrev_b32_e32 v15, v18, v15
	v_lshlrev_b32_e32 v16, 4, v16
	s_waitcnt vmcnt(0)
	v_and_b32_e32 v18, 15, v17
	v_lshrrev_b16_e32 v17, 4, v17
	v_and_or_b32 v16, v16, 16, v18
	v_and_or_b32 v15, v15, 16, v17
	v_cvt_f32_ubyte0_e32 v16, v16
	v_cvt_f32_ubyte0_e32 v15, v15
	v_fma_mix_f32 v16, v14, v16, v14 op_sel:[0,0,1] op_sel_hi:[1,0,1]
	v_fma_mix_f32 v14, v14, v15, v14 op_sel:[0,0,1] op_sel_hi:[1,0,1]
	global_store_dword v[12:13], v16, off
	global_store_dword v[12:13], v14, off offset:64
	s_andn2_b64 exec, exec, s[38:39]
	s_cbranch_execnz .LBB8_5
	s_branch .LBB8_2
.LBB8_6:
	s_endpgm
	.section	.rodata,"a",@progbits
	.p2align	6, 0x0
	.amdhsa_kernel _ZL10k_get_rowsILi32ELi2EXadL_ZL15dequantize_q5_1PKvliR15HIP_vector_typeIfLj2EEEEfEvS1_PKiPT2_llS2_IjLj3EEmmmmmmmmm
		.amdhsa_group_segment_fixed_size 0
		.amdhsa_private_segment_fixed_size 0
		.amdhsa_kernarg_size 384
		.amdhsa_user_sgpr_count 6
		.amdhsa_user_sgpr_private_segment_buffer 1
		.amdhsa_user_sgpr_dispatch_ptr 0
		.amdhsa_user_sgpr_queue_ptr 0
		.amdhsa_user_sgpr_kernarg_segment_ptr 1
		.amdhsa_user_sgpr_dispatch_id 0
		.amdhsa_user_sgpr_flat_scratch_init 0
		.amdhsa_user_sgpr_private_segment_size 0
		.amdhsa_uses_dynamic_stack 0
		.amdhsa_system_sgpr_private_segment_wavefront_offset 0
		.amdhsa_system_sgpr_workgroup_id_x 1
		.amdhsa_system_sgpr_workgroup_id_y 1
		.amdhsa_system_sgpr_workgroup_id_z 1
		.amdhsa_system_sgpr_workgroup_info 0
		.amdhsa_system_vgpr_workitem_id 0
		.amdhsa_next_free_vgpr 19
		.amdhsa_next_free_sgpr 48
		.amdhsa_reserve_vcc 1
		.amdhsa_reserve_flat_scratch 0
		.amdhsa_float_round_mode_32 0
		.amdhsa_float_round_mode_16_64 0
		.amdhsa_float_denorm_mode_32 3
		.amdhsa_float_denorm_mode_16_64 3
		.amdhsa_dx10_clamp 1
		.amdhsa_ieee_mode 1
		.amdhsa_fp16_overflow 0
		.amdhsa_exception_fp_ieee_invalid_op 0
		.amdhsa_exception_fp_denorm_src 0
		.amdhsa_exception_fp_ieee_div_zero 0
		.amdhsa_exception_fp_ieee_overflow 0
		.amdhsa_exception_fp_ieee_underflow 0
		.amdhsa_exception_fp_ieee_inexact 0
		.amdhsa_exception_int_div_zero 0
	.end_amdhsa_kernel
	.section	.text._ZL10k_get_rowsILi32ELi2EXadL_ZL15dequantize_q5_1PKvliR15HIP_vector_typeIfLj2EEEEfEvS1_PKiPT2_llS2_IjLj3EEmmmmmmmmm,"axG",@progbits,_ZL10k_get_rowsILi32ELi2EXadL_ZL15dequantize_q5_1PKvliR15HIP_vector_typeIfLj2EEEEfEvS1_PKiPT2_llS2_IjLj3EEmmmmmmmmm,comdat
.Lfunc_end8:
	.size	_ZL10k_get_rowsILi32ELi2EXadL_ZL15dequantize_q5_1PKvliR15HIP_vector_typeIfLj2EEEEfEvS1_PKiPT2_llS2_IjLj3EEmmmmmmmmm, .Lfunc_end8-_ZL10k_get_rowsILi32ELi2EXadL_ZL15dequantize_q5_1PKvliR15HIP_vector_typeIfLj2EEEEfEvS1_PKiPT2_llS2_IjLj3EEmmmmmmmmm
                                        ; -- End function
	.set _ZL10k_get_rowsILi32ELi2EXadL_ZL15dequantize_q5_1PKvliR15HIP_vector_typeIfLj2EEEEfEvS1_PKiPT2_llS2_IjLj3EEmmmmmmmmm.num_vgpr, 19
	.set _ZL10k_get_rowsILi32ELi2EXadL_ZL15dequantize_q5_1PKvliR15HIP_vector_typeIfLj2EEEEfEvS1_PKiPT2_llS2_IjLj3EEmmmmmmmmm.num_agpr, 0
	.set _ZL10k_get_rowsILi32ELi2EXadL_ZL15dequantize_q5_1PKvliR15HIP_vector_typeIfLj2EEEEfEvS1_PKiPT2_llS2_IjLj3EEmmmmmmmmm.numbered_sgpr, 48
	.set _ZL10k_get_rowsILi32ELi2EXadL_ZL15dequantize_q5_1PKvliR15HIP_vector_typeIfLj2EEEEfEvS1_PKiPT2_llS2_IjLj3EEmmmmmmmmm.num_named_barrier, 0
	.set _ZL10k_get_rowsILi32ELi2EXadL_ZL15dequantize_q5_1PKvliR15HIP_vector_typeIfLj2EEEEfEvS1_PKiPT2_llS2_IjLj3EEmmmmmmmmm.private_seg_size, 0
	.set _ZL10k_get_rowsILi32ELi2EXadL_ZL15dequantize_q5_1PKvliR15HIP_vector_typeIfLj2EEEEfEvS1_PKiPT2_llS2_IjLj3EEmmmmmmmmm.uses_vcc, 1
	.set _ZL10k_get_rowsILi32ELi2EXadL_ZL15dequantize_q5_1PKvliR15HIP_vector_typeIfLj2EEEEfEvS1_PKiPT2_llS2_IjLj3EEmmmmmmmmm.uses_flat_scratch, 0
	.set _ZL10k_get_rowsILi32ELi2EXadL_ZL15dequantize_q5_1PKvliR15HIP_vector_typeIfLj2EEEEfEvS1_PKiPT2_llS2_IjLj3EEmmmmmmmmm.has_dyn_sized_stack, 0
	.set _ZL10k_get_rowsILi32ELi2EXadL_ZL15dequantize_q5_1PKvliR15HIP_vector_typeIfLj2EEEEfEvS1_PKiPT2_llS2_IjLj3EEmmmmmmmmm.has_recursion, 0
	.set _ZL10k_get_rowsILi32ELi2EXadL_ZL15dequantize_q5_1PKvliR15HIP_vector_typeIfLj2EEEEfEvS1_PKiPT2_llS2_IjLj3EEmmmmmmmmm.has_indirect_call, 0
	.section	.AMDGPU.csdata,"",@progbits
; Kernel info:
; codeLenInByte = 812
; TotalNumSgprs: 52
; NumVgprs: 19
; ScratchSize: 0
; MemoryBound: 0
; FloatMode: 240
; IeeeMode: 1
; LDSByteSize: 0 bytes/workgroup (compile time only)
; SGPRBlocks: 6
; VGPRBlocks: 4
; NumSGPRsForWavesPerEU: 52
; NumVGPRsForWavesPerEU: 19
; Occupancy: 10
; WaveLimiterHint : 1
; COMPUTE_PGM_RSRC2:SCRATCH_EN: 0
; COMPUTE_PGM_RSRC2:USER_SGPR: 6
; COMPUTE_PGM_RSRC2:TRAP_HANDLER: 0
; COMPUTE_PGM_RSRC2:TGID_X_EN: 1
; COMPUTE_PGM_RSRC2:TGID_Y_EN: 1
; COMPUTE_PGM_RSRC2:TGID_Z_EN: 1
; COMPUTE_PGM_RSRC2:TIDIG_COMP_CNT: 0
	.section	.text._ZL10k_get_rowsILi32ELi1EXadL_ZL15dequantize_q8_0PKvliR15HIP_vector_typeIfLj2EEEEfEvS1_PKiPT2_llS2_IjLj3EEmmmmmmmmm,"axG",@progbits,_ZL10k_get_rowsILi32ELi1EXadL_ZL15dequantize_q8_0PKvliR15HIP_vector_typeIfLj2EEEEfEvS1_PKiPT2_llS2_IjLj3EEmmmmmmmmm,comdat
	.globl	_ZL10k_get_rowsILi32ELi1EXadL_ZL15dequantize_q8_0PKvliR15HIP_vector_typeIfLj2EEEEfEvS1_PKiPT2_llS2_IjLj3EEmmmmmmmmm ; -- Begin function _ZL10k_get_rowsILi32ELi1EXadL_ZL15dequantize_q8_0PKvliR15HIP_vector_typeIfLj2EEEEfEvS1_PKiPT2_llS2_IjLj3EEmmmmmmmmm
	.p2align	8
	.type	_ZL10k_get_rowsILi32ELi1EXadL_ZL15dequantize_q8_0PKvliR15HIP_vector_typeIfLj2EEEEfEvS1_PKiPT2_llS2_IjLj3EEmmmmmmmmm,@function
_ZL10k_get_rowsILi32ELi1EXadL_ZL15dequantize_q8_0PKvliR15HIP_vector_typeIfLj2EEEEfEvS1_PKiPT2_llS2_IjLj3EEmmmmmmmmm: ; @_ZL10k_get_rowsILi32ELi1EXadL_ZL15dequantize_q8_0PKvliR15HIP_vector_typeIfLj2EEEEfEvS1_PKiPT2_llS2_IjLj3EEmmmmmmmmm
; %bb.0:
	s_load_dwordx4 s[28:31], s[4:5], 0x18
	s_load_dwordx2 s[10:11], s[4:5], 0x2c
	s_mov_b32 s9, 0
	v_mov_b32_e32 v1, s8
	v_mov_b32_e32 v2, s9
	s_waitcnt lgkmcnt(0)
	s_mul_i32 s0, s31, s11
	s_mul_hi_u32 s1, s30, s11
	s_add_i32 s31, s1, s0
	s_mul_i32 s30, s30, s11
	v_cmp_le_i64_e32 vcc, s[30:31], v[1:2]
	s_cbranch_vccnz .LBB9_6
; %bb.1:
	s_load_dwordx4 s[36:39], s[4:5], 0x0
	s_load_dwordx2 s[2:3], s[4:5], 0x10
	s_load_dwordx2 s[34:35], s[4:5], 0x78
	s_load_dwordx2 s[40:41], s[4:5], 0x88
	s_load_dword s33, s[4:5], 0x28
	s_load_dwordx16 s[12:27], s[4:5], 0x38
	s_add_u32 s4, s4, 0x80
	s_addc_u32 s5, s5, 0
	s_waitcnt lgkmcnt(0)
	s_and_b32 s41, s41, 0xffff
	s_mul_i32 s7, s7, s41
	v_add_lshl_u32 v0, s7, v0, 1
	s_ashr_i32 s7, s6, 31
	s_mul_hi_u32 s42, s24, s6
	s_mul_i32 s43, s24, s7
	s_add_i32 s42, s42, s43
	s_mul_i32 s25, s25, s6
	s_add_i32 s25, s42, s25
	s_mul_i32 s24, s24, s6
	s_lshl_b64 s[24:25], s[24:25], 2
	s_add_u32 s44, s38, s24
	s_mul_hi_u32 s24, s12, s6
	s_mul_i32 s7, s12, s7
	s_addc_u32 s45, s39, s25
	s_add_i32 s7, s24, s7
	s_mul_i32 s13, s13, s6
	s_add_i32 s7, s7, s13
	s_mul_i32 s6, s12, s6
	v_mov_b32_e32 v1, 0
	s_lshl_b64 s[6:7], s[6:7], 2
	v_cmp_gt_i64_e64 s[0:1], s[28:29], v[0:1]
	s_add_u32 s46, s2, s6
	v_lshlrev_b64 v[2:3], 27, v[0:1]
	s_addc_u32 s47, s3, s7
	v_mov_b32_e32 v4, v1
	v_mov_b32_e32 v5, v0
	s_mov_b64 s[6:7], s[8:9]
	s_branch .LBB9_3
.LBB9_2:                                ;   in Loop: Header=BB9_3 Depth=1
	s_or_b64 exec, exec, s[12:13]
	s_add_u32 s6, s6, s40
	v_mov_b32_e32 v6, s30
	s_addc_u32 s7, s7, 0
	v_mov_b32_e32 v7, s31
	v_cmp_ge_i64_e32 vcc, s[6:7], v[6:7]
	s_cbranch_vccnz .LBB9_6
.LBB9_3:                                ; =>This Loop Header: Depth=1
                                        ;     Child Loop BB9_5 Depth 2
	s_and_saveexec_b64 s[12:13], s[0:1]
	s_cbranch_execz .LBB9_2
; %bb.4:                                ;   in Loop: Header=BB9_3 Depth=1
	s_mul_hi_u32 s2, s6, s33
	s_add_i32 s2, s2, s6
	s_lshr_b32 s8, s2, s10
	s_mul_i32 s2, s8, s11
	s_sub_i32 s38, s6, s2
	s_ashr_i32 s39, s8, 31
	s_mul_i32 s2, s26, s39
	s_mul_hi_u32 s3, s26, s8
	s_ashr_i32 s42, s38, 31
	s_add_i32 s2, s3, s2
	s_mul_i32 s3, s27, s8
	s_mul_i32 s24, s34, s42
	s_mul_hi_u32 s25, s34, s38
	s_add_i32 s3, s2, s3
	s_mul_i32 s2, s26, s8
	s_add_i32 s24, s25, s24
	s_mul_i32 s25, s35, s38
	s_add_i32 s25, s24, s25
	s_lshl_b64 s[2:3], s[2:3], 2
	s_mul_i32 s24, s34, s38
	s_add_u32 s43, s44, s2
	s_addc_u32 s48, s45, s3
	s_lshl_b64 s[2:3], s[24:25], 2
	s_add_u32 s2, s43, s2
	s_addc_u32 s3, s48, s3
	s_load_dword s24, s[2:3], 0x0
	s_mul_i32 s2, s14, s39
	s_mul_hi_u32 s3, s14, s8
	s_add_i32 s2, s3, s2
	s_mul_i32 s3, s15, s8
	s_add_i32 s3, s2, s3
	s_mul_i32 s2, s14, s8
	s_waitcnt lgkmcnt(0)
	s_ashr_i32 s25, s24, 31
	s_lshl_b64 s[2:3], s[2:3], 2
	s_add_u32 s43, s46, s2
	s_addc_u32 s49, s47, s3
	s_mul_i32 s2, s16, s42
	s_mul_hi_u32 s3, s16, s38
	s_add_i32 s2, s3, s2
	s_mul_i32 s3, s17, s38
	s_add_i32 s3, s2, s3
	s_mul_i32 s2, s16, s38
	s_lshl_b64 s[2:3], s[2:3], 2
	s_add_u32 s48, s43, s2
	s_addc_u32 s2, s49, s3
	s_mul_i32 s3, s18, s25
	s_mul_hi_u32 s25, s18, s24
	s_add_i32 s3, s25, s3
	s_mul_i32 s25, s19, s24
	s_add_i32 s3, s3, s25
	s_mul_i32 s24, s18, s24
	s_add_u32 s24, s36, s24
	s_mul_i32 s25, s20, s39
	s_mul_hi_u32 s39, s20, s8
	s_addc_u32 s3, s37, s3
	s_add_i32 s25, s39, s25
	s_mul_i32 s39, s21, s8
	s_add_i32 s25, s25, s39
	s_mul_i32 s8, s20, s8
	s_load_dword s39, s[4:5], 0x4
	s_add_u32 s8, s24, s8
	s_addc_u32 s3, s3, s25
	s_mul_i32 s24, s22, s42
	s_mul_hi_u32 s25, s22, s38
	s_add_i32 s24, s25, s24
	s_mul_i32 s25, s23, s38
	s_add_i32 s25, s24, s25
	s_mul_i32 s24, s22, s38
	s_add_u32 s24, s8, s24
	s_waitcnt lgkmcnt(0)
	s_mul_i32 s8, s39, s41
	s_addc_u32 s25, s3, s25
	s_lshl_b64 s[38:39], s[8:9], 27
	v_mov_b32_e32 v7, v5
	v_mov_b32_e32 v9, v3
	;; [unrolled: 1-line block ×3, first 2 shown]
	s_mov_b64 s[42:43], 0
	v_mov_b32_e32 v12, s2
	v_mov_b32_e32 v13, s39
	;; [unrolled: 1-line block ×6, first 2 shown]
.LBB9_5:                                ;   Parent Loop BB9_3 Depth=1
                                        ; =>  This Inner Loop Header: Depth=2
	v_mad_i64_i32 v[15:16], s[2:3], v9, 34, s[24:25]
	v_and_b32_e32 v17, 31, v10
	v_add_co_u32_e32 v17, vcc, v15, v17
	v_addc_co_u32_e32 v18, vcc, 0, v16, vcc
	global_load_ushort v19, v[15:16], off
	global_load_ushort v20, v[17:18], off offset:2
	v_add_co_u32_e32 v10, vcc, s8, v10
	v_addc_co_u32_e32 v11, vcc, 0, v11, vcc
	v_add_co_u32_e32 v8, vcc, s38, v8
	v_addc_co_u32_e32 v9, vcc, v9, v13, vcc
	v_ashrrev_i64 v[15:16], 30, v[6:7]
	v_add_co_u32_e32 v6, vcc, 0, v6
	v_addc_co_u32_e32 v7, vcc, v7, v14, vcc
	v_cmp_le_i64_e32 vcc, s[28:29], v[10:11]
	v_add_co_u32_e64 v15, s[2:3], s48, v15
	v_addc_co_u32_e64 v16, s[2:3], v12, v16, s[2:3]
	s_or_b64 s[42:43], vcc, s[42:43]
	s_waitcnt vmcnt(1)
	v_cvt_f32_f16_e32 v18, v19
	s_waitcnt vmcnt(0)
	v_bfe_i32 v17, v20, 0, 8
	v_ashrrev_i16_e32 v19, 8, v20
	v_cvt_f32_i32_sdwa v17, sext(v17) dst_sel:DWORD dst_unused:UNUSED_PAD src0_sel:WORD_0
	v_cvt_f32_i32_sdwa v19, sext(v19) dst_sel:DWORD dst_unused:UNUSED_PAD src0_sel:WORD_0
	v_mul_f32_e32 v17, v18, v17
	v_mul_f32_e32 v18, v18, v19
	global_store_dwordx2 v[15:16], v[17:18], off
	s_andn2_b64 exec, exec, s[42:43]
	s_cbranch_execnz .LBB9_5
	s_branch .LBB9_2
.LBB9_6:
	s_endpgm
	.section	.rodata,"a",@progbits
	.p2align	6, 0x0
	.amdhsa_kernel _ZL10k_get_rowsILi32ELi1EXadL_ZL15dequantize_q8_0PKvliR15HIP_vector_typeIfLj2EEEEfEvS1_PKiPT2_llS2_IjLj3EEmmmmmmmmm
		.amdhsa_group_segment_fixed_size 0
		.amdhsa_private_segment_fixed_size 0
		.amdhsa_kernarg_size 384
		.amdhsa_user_sgpr_count 6
		.amdhsa_user_sgpr_private_segment_buffer 1
		.amdhsa_user_sgpr_dispatch_ptr 0
		.amdhsa_user_sgpr_queue_ptr 0
		.amdhsa_user_sgpr_kernarg_segment_ptr 1
		.amdhsa_user_sgpr_dispatch_id 0
		.amdhsa_user_sgpr_flat_scratch_init 0
		.amdhsa_user_sgpr_private_segment_size 0
		.amdhsa_uses_dynamic_stack 0
		.amdhsa_system_sgpr_private_segment_wavefront_offset 0
		.amdhsa_system_sgpr_workgroup_id_x 1
		.amdhsa_system_sgpr_workgroup_id_y 1
		.amdhsa_system_sgpr_workgroup_id_z 1
		.amdhsa_system_sgpr_workgroup_info 0
		.amdhsa_system_vgpr_workitem_id 0
		.amdhsa_next_free_vgpr 21
		.amdhsa_next_free_sgpr 50
		.amdhsa_reserve_vcc 1
		.amdhsa_reserve_flat_scratch 0
		.amdhsa_float_round_mode_32 0
		.amdhsa_float_round_mode_16_64 0
		.amdhsa_float_denorm_mode_32 3
		.amdhsa_float_denorm_mode_16_64 3
		.amdhsa_dx10_clamp 1
		.amdhsa_ieee_mode 1
		.amdhsa_fp16_overflow 0
		.amdhsa_exception_fp_ieee_invalid_op 0
		.amdhsa_exception_fp_denorm_src 0
		.amdhsa_exception_fp_ieee_div_zero 0
		.amdhsa_exception_fp_ieee_overflow 0
		.amdhsa_exception_fp_ieee_underflow 0
		.amdhsa_exception_fp_ieee_inexact 0
		.amdhsa_exception_int_div_zero 0
	.end_amdhsa_kernel
	.section	.text._ZL10k_get_rowsILi32ELi1EXadL_ZL15dequantize_q8_0PKvliR15HIP_vector_typeIfLj2EEEEfEvS1_PKiPT2_llS2_IjLj3EEmmmmmmmmm,"axG",@progbits,_ZL10k_get_rowsILi32ELi1EXadL_ZL15dequantize_q8_0PKvliR15HIP_vector_typeIfLj2EEEEfEvS1_PKiPT2_llS2_IjLj3EEmmmmmmmmm,comdat
.Lfunc_end9:
	.size	_ZL10k_get_rowsILi32ELi1EXadL_ZL15dequantize_q8_0PKvliR15HIP_vector_typeIfLj2EEEEfEvS1_PKiPT2_llS2_IjLj3EEmmmmmmmmm, .Lfunc_end9-_ZL10k_get_rowsILi32ELi1EXadL_ZL15dequantize_q8_0PKvliR15HIP_vector_typeIfLj2EEEEfEvS1_PKiPT2_llS2_IjLj3EEmmmmmmmmm
                                        ; -- End function
	.set _ZL10k_get_rowsILi32ELi1EXadL_ZL15dequantize_q8_0PKvliR15HIP_vector_typeIfLj2EEEEfEvS1_PKiPT2_llS2_IjLj3EEmmmmmmmmm.num_vgpr, 21
	.set _ZL10k_get_rowsILi32ELi1EXadL_ZL15dequantize_q8_0PKvliR15HIP_vector_typeIfLj2EEEEfEvS1_PKiPT2_llS2_IjLj3EEmmmmmmmmm.num_agpr, 0
	.set _ZL10k_get_rowsILi32ELi1EXadL_ZL15dequantize_q8_0PKvliR15HIP_vector_typeIfLj2EEEEfEvS1_PKiPT2_llS2_IjLj3EEmmmmmmmmm.numbered_sgpr, 50
	.set _ZL10k_get_rowsILi32ELi1EXadL_ZL15dequantize_q8_0PKvliR15HIP_vector_typeIfLj2EEEEfEvS1_PKiPT2_llS2_IjLj3EEmmmmmmmmm.num_named_barrier, 0
	.set _ZL10k_get_rowsILi32ELi1EXadL_ZL15dequantize_q8_0PKvliR15HIP_vector_typeIfLj2EEEEfEvS1_PKiPT2_llS2_IjLj3EEmmmmmmmmm.private_seg_size, 0
	.set _ZL10k_get_rowsILi32ELi1EXadL_ZL15dequantize_q8_0PKvliR15HIP_vector_typeIfLj2EEEEfEvS1_PKiPT2_llS2_IjLj3EEmmmmmmmmm.uses_vcc, 1
	.set _ZL10k_get_rowsILi32ELi1EXadL_ZL15dequantize_q8_0PKvliR15HIP_vector_typeIfLj2EEEEfEvS1_PKiPT2_llS2_IjLj3EEmmmmmmmmm.uses_flat_scratch, 0
	.set _ZL10k_get_rowsILi32ELi1EXadL_ZL15dequantize_q8_0PKvliR15HIP_vector_typeIfLj2EEEEfEvS1_PKiPT2_llS2_IjLj3EEmmmmmmmmm.has_dyn_sized_stack, 0
	.set _ZL10k_get_rowsILi32ELi1EXadL_ZL15dequantize_q8_0PKvliR15HIP_vector_typeIfLj2EEEEfEvS1_PKiPT2_llS2_IjLj3EEmmmmmmmmm.has_recursion, 0
	.set _ZL10k_get_rowsILi32ELi1EXadL_ZL15dequantize_q8_0PKvliR15HIP_vector_typeIfLj2EEEEfEvS1_PKiPT2_llS2_IjLj3EEmmmmmmmmm.has_indirect_call, 0
	.section	.AMDGPU.csdata,"",@progbits
; Kernel info:
; codeLenInByte = 796
; TotalNumSgprs: 54
; NumVgprs: 21
; ScratchSize: 0
; MemoryBound: 0
; FloatMode: 240
; IeeeMode: 1
; LDSByteSize: 0 bytes/workgroup (compile time only)
; SGPRBlocks: 6
; VGPRBlocks: 5
; NumSGPRsForWavesPerEU: 54
; NumVGPRsForWavesPerEU: 21
; Occupancy: 10
; WaveLimiterHint : 1
; COMPUTE_PGM_RSRC2:SCRATCH_EN: 0
; COMPUTE_PGM_RSRC2:USER_SGPR: 6
; COMPUTE_PGM_RSRC2:TRAP_HANDLER: 0
; COMPUTE_PGM_RSRC2:TGID_X_EN: 1
; COMPUTE_PGM_RSRC2:TGID_Y_EN: 1
; COMPUTE_PGM_RSRC2:TGID_Z_EN: 1
; COMPUTE_PGM_RSRC2:TIDIG_COMP_CNT: 0
	.section	.text._ZL16k_get_rows_floatI6__halfiEvPKT_PKiPT0_ll15HIP_vector_typeIjLj3EEmmmmmmmmm,"axG",@progbits,_ZL16k_get_rows_floatI6__halfiEvPKT_PKiPT0_ll15HIP_vector_typeIjLj3EEmmmmmmmmm,comdat
	.globl	_ZL16k_get_rows_floatI6__halfiEvPKT_PKiPT0_ll15HIP_vector_typeIjLj3EEmmmmmmmmm ; -- Begin function _ZL16k_get_rows_floatI6__halfiEvPKT_PKiPT0_ll15HIP_vector_typeIjLj3EEmmmmmmmmm
	.p2align	8
	.type	_ZL16k_get_rows_floatI6__halfiEvPKT_PKiPT0_ll15HIP_vector_typeIjLj3EEmmmmmmmmm,@function
_ZL16k_get_rows_floatI6__halfiEvPKT_PKiPT0_ll15HIP_vector_typeIjLj3EEmmmmmmmmm: ; @_ZL16k_get_rows_floatI6__halfiEvPKT_PKiPT0_ll15HIP_vector_typeIjLj3EEmmmmmmmmm
; %bb.0:
	s_load_dwordx2 s[0:1], s[4:5], 0x20
	s_load_dwordx2 s[2:3], s[4:5], 0x2c
	s_mov_b32 s9, 0
	v_mov_b32_e32 v1, s8
	v_mov_b32_e32 v2, s9
	s_waitcnt lgkmcnt(0)
	s_mul_i32 s1, s1, s3
	s_mul_hi_u32 s10, s0, s3
	s_add_i32 s11, s10, s1
	s_mul_i32 s10, s0, s3
	v_cmp_le_i64_e32 vcc, s[10:11], v[1:2]
	s_cbranch_vccnz .LBB10_6
; %bb.1:
	s_load_dwordx8 s[36:43], s[4:5], 0x0
	s_load_dwordx2 s[28:29], s[4:5], 0x78
	s_load_dwordx2 s[30:31], s[4:5], 0x88
	s_load_dword s33, s[4:5], 0x28
	s_load_dwordx16 s[12:27], s[4:5], 0x38
	s_add_u32 s4, s4, 0x80
	s_addc_u32 s5, s5, 0
	s_waitcnt lgkmcnt(0)
	s_and_b32 s31, s31, 0xffff
	s_mul_i32 s7, s7, s31
	v_add_u32_e32 v0, s7, v0
	s_ashr_i32 s7, s6, 31
	s_mul_hi_u32 s34, s24, s6
	s_mul_i32 s35, s24, s7
	s_add_i32 s34, s34, s35
	s_mul_i32 s25, s25, s6
	s_add_i32 s25, s34, s25
	s_mul_i32 s24, s24, s6
	s_lshl_b64 s[24:25], s[24:25], 2
	s_add_u32 s44, s38, s24
	s_mul_hi_u32 s24, s12, s6
	s_mul_i32 s7, s12, s7
	s_addc_u32 s45, s39, s25
	s_add_i32 s7, s24, s7
	s_mul_i32 s13, s13, s6
	s_add_i32 s7, s7, s13
	s_mul_i32 s6, s12, s6
	v_mov_b32_e32 v1, 0
	s_lshl_b64 s[6:7], s[6:7], 2
	v_lshlrev_b64 v[2:3], 2, v[0:1]
	s_add_u32 s6, s40, s6
	s_addc_u32 s7, s41, s7
	v_mov_b32_e32 v4, s7
	v_add_co_u32_e32 v8, vcc, s6, v2
	v_addc_co_u32_e32 v9, vcc, v4, v3, vcc
	v_lshlrev_b64 v[2:3], 1, v[0:1]
	v_cmp_gt_i64_e64 s[0:1], s[42:43], v[0:1]
	v_mov_b32_e32 v4, s37
	v_add_co_u32_e32 v10, vcc, s36, v2
	s_lshl_b64 s[6:7], s[14:15], 2
	s_lshl_b64 s[12:13], s[16:17], 2
	v_addc_co_u32_e32 v11, vcc, v4, v3, vcc
	s_mov_b64 s[14:15], s[8:9]
	s_branch .LBB10_3
.LBB10_2:                               ;   in Loop: Header=BB10_3 Depth=1
	s_or_b64 exec, exec, s[16:17]
	s_add_u32 s14, s14, s30
	v_mov_b32_e32 v2, s10
	s_addc_u32 s15, s15, 0
	v_mov_b32_e32 v3, s11
	v_cmp_lt_i64_e32 vcc, s[14:15], v[2:3]
	s_cbranch_vccz .LBB10_6
.LBB10_3:                               ; =>This Loop Header: Depth=1
                                        ;     Child Loop BB10_5 Depth 2
	s_and_saveexec_b64 s[16:17], s[0:1]
	s_cbranch_execz .LBB10_2
; %bb.4:                                ;   in Loop: Header=BB10_3 Depth=1
	s_mul_hi_u32 s8, s14, s33
	s_add_i32 s8, s8, s14
	s_lshr_b32 s36, s8, s2
	s_mul_i32 s8, s36, s3
	s_ashr_i32 s38, s36, 31
	s_sub_i32 s37, s14, s8
	s_mul_i32 s8, s26, s38
	s_mul_hi_u32 s24, s26, s36
	s_add_i32 s8, s24, s8
	s_mul_i32 s24, s27, s36
	s_ashr_i32 s39, s37, 31
	s_add_i32 s25, s8, s24
	s_mul_i32 s8, s28, s39
	s_mul_hi_u32 s34, s28, s37
	s_mul_i32 s24, s26, s36
	s_add_i32 s8, s34, s8
	s_mul_i32 s34, s29, s37
	s_add_i32 s35, s8, s34
	s_lshl_b64 s[24:25], s[24:25], 2
	s_mul_i32 s34, s28, s37
	s_add_u32 s8, s44, s24
	s_addc_u32 s40, s45, s25
	s_lshl_b64 s[24:25], s[34:35], 2
	s_load_dword s35, s[4:5], 0x4
	s_add_u32 s24, s8, s24
	s_mul_i32 s8, s20, s38
	s_mul_hi_u32 s34, s20, s36
	s_addc_u32 s25, s40, s25
	s_add_i32 s8, s34, s8
	s_mul_i32 s34, s21, s36
	s_add_i32 s40, s8, s34
	s_waitcnt lgkmcnt(0)
	s_mul_i32 s8, s35, s31
	s_mul_i32 s34, s6, s38
	s_mul_hi_u32 s35, s6, s36
	s_add_i32 s34, s35, s34
	s_mul_i32 s35, s7, s36
	s_mul_i32 s41, s20, s36
	s_add_i32 s34, s34, s35
	s_mul_i32 s35, s6, s36
	s_mul_i32 s36, s12, s39
	s_mul_hi_u32 s38, s12, s37
	s_add_i32 s36, s38, s36
	s_mul_i32 s38, s13, s37
	s_add_i32 s36, s36, s38
	s_mul_i32 s38, s12, s37
	s_add_u32 s35, s35, s38
	s_addc_u32 s34, s34, s36
	s_mul_i32 s36, s22, s39
	s_mul_hi_u32 s38, s22, s37
	s_add_i32 s36, s38, s36
	s_mul_i32 s38, s23, s37
	v_mov_b32_e32 v3, s34
	v_add_co_u32_e32 v2, vcc, s35, v8
	s_lshl_b64 s[34:35], s[8:9], 2
	s_add_i32 s36, s36, s38
	s_mul_i32 s37, s22, s37
	s_add_u32 s37, s41, s37
	v_addc_co_u32_e32 v3, vcc, v9, v3, vcc
	s_addc_u32 s36, s40, s36
	v_mov_b32_e32 v5, s36
	v_add_co_u32_e32 v4, vcc, s37, v10
	s_lshl_b64 s[36:37], s[8:9], 1
	v_mov_b32_e32 v7, v1
	v_addc_co_u32_e32 v5, vcc, v11, v5, vcc
	s_mov_b64 s[38:39], 0
	v_mov_b32_e32 v12, s35
	v_mov_b32_e32 v13, s37
	v_mov_b32_e32 v6, v0
.LBB10_5:                               ;   Parent Loop BB10_3 Depth=1
                                        ; =>  This Inner Loop Header: Depth=2
	global_load_dword v14, v1, s[24:25]
	v_add_co_u32_e32 v6, vcc, s8, v6
	v_addc_co_u32_e32 v7, vcc, 0, v7, vcc
	v_cmp_le_i64_e32 vcc, s[42:43], v[6:7]
	s_or_b64 s[38:39], vcc, s[38:39]
	s_waitcnt vmcnt(0)
	v_ashrrev_i32_e32 v16, 31, v14
	v_mul_lo_u32 v17, s19, v14
	v_mul_lo_u32 v16, s18, v16
	v_mad_u64_u32 v[14:15], s[40:41], s18, v14, v[4:5]
	v_add_co_u32_e32 v4, vcc, s36, v4
	v_add_u32_e32 v16, v16, v17
	v_add_u32_e32 v15, v16, v15
	global_load_ushort v14, v[14:15], off
	v_addc_co_u32_e32 v5, vcc, v5, v13, vcc
	s_waitcnt vmcnt(0)
	v_cvt_f32_f16_e32 v14, v14
	v_cvt_i32_f32_e32 v14, v14
	global_store_dword v[2:3], v14, off
	v_add_co_u32_e32 v2, vcc, s34, v2
	v_addc_co_u32_e32 v3, vcc, v3, v12, vcc
	s_andn2_b64 exec, exec, s[38:39]
	s_cbranch_execnz .LBB10_5
	s_branch .LBB10_2
.LBB10_6:
	s_endpgm
	.section	.rodata,"a",@progbits
	.p2align	6, 0x0
	.amdhsa_kernel _ZL16k_get_rows_floatI6__halfiEvPKT_PKiPT0_ll15HIP_vector_typeIjLj3EEmmmmmmmmm
		.amdhsa_group_segment_fixed_size 0
		.amdhsa_private_segment_fixed_size 0
		.amdhsa_kernarg_size 384
		.amdhsa_user_sgpr_count 6
		.amdhsa_user_sgpr_private_segment_buffer 1
		.amdhsa_user_sgpr_dispatch_ptr 0
		.amdhsa_user_sgpr_queue_ptr 0
		.amdhsa_user_sgpr_kernarg_segment_ptr 1
		.amdhsa_user_sgpr_dispatch_id 0
		.amdhsa_user_sgpr_flat_scratch_init 0
		.amdhsa_user_sgpr_private_segment_size 0
		.amdhsa_uses_dynamic_stack 0
		.amdhsa_system_sgpr_private_segment_wavefront_offset 0
		.amdhsa_system_sgpr_workgroup_id_x 1
		.amdhsa_system_sgpr_workgroup_id_y 1
		.amdhsa_system_sgpr_workgroup_id_z 1
		.amdhsa_system_sgpr_workgroup_info 0
		.amdhsa_system_vgpr_workitem_id 0
		.amdhsa_next_free_vgpr 18
		.amdhsa_next_free_sgpr 46
		.amdhsa_reserve_vcc 1
		.amdhsa_reserve_flat_scratch 0
		.amdhsa_float_round_mode_32 0
		.amdhsa_float_round_mode_16_64 0
		.amdhsa_float_denorm_mode_32 3
		.amdhsa_float_denorm_mode_16_64 3
		.amdhsa_dx10_clamp 1
		.amdhsa_ieee_mode 1
		.amdhsa_fp16_overflow 0
		.amdhsa_exception_fp_ieee_invalid_op 0
		.amdhsa_exception_fp_denorm_src 0
		.amdhsa_exception_fp_ieee_div_zero 0
		.amdhsa_exception_fp_ieee_overflow 0
		.amdhsa_exception_fp_ieee_underflow 0
		.amdhsa_exception_fp_ieee_inexact 0
		.amdhsa_exception_int_div_zero 0
	.end_amdhsa_kernel
	.section	.text._ZL16k_get_rows_floatI6__halfiEvPKT_PKiPT0_ll15HIP_vector_typeIjLj3EEmmmmmmmmm,"axG",@progbits,_ZL16k_get_rows_floatI6__halfiEvPKT_PKiPT0_ll15HIP_vector_typeIjLj3EEmmmmmmmmm,comdat
.Lfunc_end10:
	.size	_ZL16k_get_rows_floatI6__halfiEvPKT_PKiPT0_ll15HIP_vector_typeIjLj3EEmmmmmmmmm, .Lfunc_end10-_ZL16k_get_rows_floatI6__halfiEvPKT_PKiPT0_ll15HIP_vector_typeIjLj3EEmmmmmmmmm
                                        ; -- End function
	.set _ZL16k_get_rows_floatI6__halfiEvPKT_PKiPT0_ll15HIP_vector_typeIjLj3EEmmmmmmmmm.num_vgpr, 18
	.set _ZL16k_get_rows_floatI6__halfiEvPKT_PKiPT0_ll15HIP_vector_typeIjLj3EEmmmmmmmmm.num_agpr, 0
	.set _ZL16k_get_rows_floatI6__halfiEvPKT_PKiPT0_ll15HIP_vector_typeIjLj3EEmmmmmmmmm.numbered_sgpr, 46
	.set _ZL16k_get_rows_floatI6__halfiEvPKT_PKiPT0_ll15HIP_vector_typeIjLj3EEmmmmmmmmm.num_named_barrier, 0
	.set _ZL16k_get_rows_floatI6__halfiEvPKT_PKiPT0_ll15HIP_vector_typeIjLj3EEmmmmmmmmm.private_seg_size, 0
	.set _ZL16k_get_rows_floatI6__halfiEvPKT_PKiPT0_ll15HIP_vector_typeIjLj3EEmmmmmmmmm.uses_vcc, 1
	.set _ZL16k_get_rows_floatI6__halfiEvPKT_PKiPT0_ll15HIP_vector_typeIjLj3EEmmmmmmmmm.uses_flat_scratch, 0
	.set _ZL16k_get_rows_floatI6__halfiEvPKT_PKiPT0_ll15HIP_vector_typeIjLj3EEmmmmmmmmm.has_dyn_sized_stack, 0
	.set _ZL16k_get_rows_floatI6__halfiEvPKT_PKiPT0_ll15HIP_vector_typeIjLj3EEmmmmmmmmm.has_recursion, 0
	.set _ZL16k_get_rows_floatI6__halfiEvPKT_PKiPT0_ll15HIP_vector_typeIjLj3EEmmmmmmmmm.has_indirect_call, 0
	.section	.AMDGPU.csdata,"",@progbits
; Kernel info:
; codeLenInByte = 712
; TotalNumSgprs: 50
; NumVgprs: 18
; ScratchSize: 0
; MemoryBound: 0
; FloatMode: 240
; IeeeMode: 1
; LDSByteSize: 0 bytes/workgroup (compile time only)
; SGPRBlocks: 6
; VGPRBlocks: 4
; NumSGPRsForWavesPerEU: 50
; NumVGPRsForWavesPerEU: 18
; Occupancy: 10
; WaveLimiterHint : 1
; COMPUTE_PGM_RSRC2:SCRATCH_EN: 0
; COMPUTE_PGM_RSRC2:USER_SGPR: 6
; COMPUTE_PGM_RSRC2:TRAP_HANDLER: 0
; COMPUTE_PGM_RSRC2:TGID_X_EN: 1
; COMPUTE_PGM_RSRC2:TGID_Y_EN: 1
; COMPUTE_PGM_RSRC2:TGID_Z_EN: 1
; COMPUTE_PGM_RSRC2:TIDIG_COMP_CNT: 0
	.section	.text._ZL16k_get_rows_floatIfiEvPKT_PKiPT0_ll15HIP_vector_typeIjLj3EEmmmmmmmmm,"axG",@progbits,_ZL16k_get_rows_floatIfiEvPKT_PKiPT0_ll15HIP_vector_typeIjLj3EEmmmmmmmmm,comdat
	.globl	_ZL16k_get_rows_floatIfiEvPKT_PKiPT0_ll15HIP_vector_typeIjLj3EEmmmmmmmmm ; -- Begin function _ZL16k_get_rows_floatIfiEvPKT_PKiPT0_ll15HIP_vector_typeIjLj3EEmmmmmmmmm
	.p2align	8
	.type	_ZL16k_get_rows_floatIfiEvPKT_PKiPT0_ll15HIP_vector_typeIjLj3EEmmmmmmmmm,@function
_ZL16k_get_rows_floatIfiEvPKT_PKiPT0_ll15HIP_vector_typeIjLj3EEmmmmmmmmm: ; @_ZL16k_get_rows_floatIfiEvPKT_PKiPT0_ll15HIP_vector_typeIjLj3EEmmmmmmmmm
; %bb.0:
	s_load_dwordx2 s[0:1], s[4:5], 0x20
	s_load_dwordx2 s[2:3], s[4:5], 0x2c
	s_mov_b32 s9, 0
	v_mov_b32_e32 v1, s8
	v_mov_b32_e32 v2, s9
	s_waitcnt lgkmcnt(0)
	s_mul_i32 s1, s1, s3
	s_mul_hi_u32 s10, s0, s3
	s_add_i32 s31, s10, s1
	s_mul_i32 s30, s0, s3
	v_cmp_le_i64_e32 vcc, s[30:31], v[1:2]
	s_cbranch_vccnz .LBB11_6
; %bb.1:
	s_load_dwordx8 s[36:43], s[4:5], 0x0
	s_load_dwordx2 s[10:11], s[4:5], 0x78
	s_load_dwordx2 s[28:29], s[4:5], 0x88
	s_load_dword s33, s[4:5], 0x28
	s_load_dwordx16 s[12:27], s[4:5], 0x38
	s_add_u32 s4, s4, 0x80
	s_addc_u32 s5, s5, 0
	s_waitcnt lgkmcnt(0)
	s_and_b32 s29, s29, 0xffff
	s_mul_i32 s7, s7, s29
	v_add_u32_e32 v0, s7, v0
	s_ashr_i32 s7, s6, 31
	s_mul_hi_u32 s34, s24, s6
	s_mul_i32 s35, s24, s7
	s_add_i32 s34, s34, s35
	s_mul_i32 s25, s25, s6
	s_add_i32 s25, s34, s25
	s_mul_i32 s24, s24, s6
	s_lshl_b64 s[24:25], s[24:25], 2
	s_add_u32 s38, s38, s24
	s_mul_hi_u32 s24, s12, s6
	s_mul_i32 s7, s12, s7
	s_addc_u32 s39, s39, s25
	s_add_i32 s7, s24, s7
	s_mul_i32 s13, s13, s6
	s_add_i32 s7, s7, s13
	s_mul_i32 s6, s12, s6
	v_mov_b32_e32 v1, 0
	s_lshl_b64 s[6:7], s[6:7], 2
	v_lshlrev_b64 v[2:3], 2, v[0:1]
	s_add_u32 s6, s40, s6
	s_addc_u32 s7, s41, s7
	v_mov_b32_e32 v4, s7
	v_add_co_u32_e32 v6, vcc, s6, v2
	v_addc_co_u32_e32 v7, vcc, v4, v3, vcc
	v_mov_b32_e32 v4, s37
	v_add_co_u32_e32 v8, vcc, s36, v2
	v_cmp_gt_i64_e64 s[0:1], s[42:43], v[0:1]
	v_addc_co_u32_e32 v9, vcc, v4, v3, vcc
	v_mov_b32_e32 v2, s30
	s_lshl_b64 s[6:7], s[14:15], 2
	s_lshl_b64 s[12:13], s[16:17], 2
	v_mov_b32_e32 v3, s31
	s_mov_b64 s[14:15], s[8:9]
	s_branch .LBB11_3
.LBB11_2:                               ;   in Loop: Header=BB11_3 Depth=1
	s_or_b64 exec, exec, s[16:17]
	s_add_u32 s14, s14, s28
	s_addc_u32 s15, s15, 0
	v_cmp_lt_i64_e32 vcc, s[14:15], v[2:3]
	s_cbranch_vccz .LBB11_6
.LBB11_3:                               ; =>This Loop Header: Depth=1
                                        ;     Child Loop BB11_5 Depth 2
	s_and_saveexec_b64 s[16:17], s[0:1]
	s_cbranch_execz .LBB11_2
; %bb.4:                                ;   in Loop: Header=BB11_3 Depth=1
	s_mul_hi_u32 s8, s14, s33
	s_add_i32 s8, s8, s14
	s_lshr_b32 s34, s8, s2
	s_mul_i32 s8, s34, s3
	s_ashr_i32 s36, s34, 31
	s_sub_i32 s35, s14, s8
	s_mul_i32 s8, s26, s36
	s_mul_hi_u32 s24, s26, s34
	s_add_i32 s8, s24, s8
	s_mul_i32 s24, s27, s34
	s_ashr_i32 s37, s35, 31
	s_add_i32 s25, s8, s24
	s_mul_i32 s8, s10, s37
	s_mul_hi_u32 s30, s10, s35
	s_mul_i32 s24, s26, s34
	s_add_i32 s8, s30, s8
	s_mul_i32 s30, s11, s35
	s_add_i32 s31, s8, s30
	s_lshl_b64 s[24:25], s[24:25], 2
	s_mul_i32 s30, s10, s35
	s_add_u32 s8, s38, s24
	s_addc_u32 s40, s39, s25
	s_lshl_b64 s[24:25], s[30:31], 2
	s_load_dword s31, s[4:5], 0x4
	s_add_u32 s24, s8, s24
	s_mul_i32 s8, s20, s36
	s_mul_hi_u32 s30, s20, s34
	s_addc_u32 s25, s40, s25
	s_add_i32 s8, s30, s8
	s_mul_i32 s30, s21, s34
	s_add_i32 s40, s8, s30
	s_waitcnt lgkmcnt(0)
	s_mul_i32 s8, s31, s29
	s_mul_i32 s30, s6, s36
	s_mul_hi_u32 s31, s6, s34
	s_add_i32 s30, s31, s30
	s_mul_i32 s31, s7, s34
	s_mul_i32 s41, s20, s34
	s_add_i32 s30, s30, s31
	s_mul_i32 s31, s6, s34
	s_mul_i32 s34, s12, s37
	s_mul_hi_u32 s36, s12, s35
	s_add_i32 s34, s36, s34
	s_mul_i32 s36, s13, s35
	s_add_i32 s34, s34, s36
	s_mul_i32 s36, s12, s35
	s_add_u32 s31, s31, s36
	s_addc_u32 s30, s30, s34
	s_mul_i32 s34, s22, s37
	s_mul_hi_u32 s36, s22, s35
	s_add_i32 s34, s36, s34
	s_mul_i32 s36, s23, s35
	v_mov_b32_e32 v4, s30
	v_add_co_u32_e32 v10, vcc, s31, v6
	s_lshl_b64 s[30:31], s[8:9], 2
	s_add_i32 s34, s34, s36
	s_mul_i32 s35, s22, s35
	s_add_u32 s35, s41, s35
	v_addc_co_u32_e32 v11, vcc, v7, v4, vcc
	s_addc_u32 s34, s40, s34
	v_mov_b32_e32 v4, s34
	v_add_co_u32_e32 v12, vcc, s35, v8
	v_addc_co_u32_e32 v13, vcc, v9, v4, vcc
	v_mov_b32_e32 v5, v1
	s_mov_b64 s[34:35], 0
	s_mov_b64 s[36:37], 0
	v_mov_b32_e32 v4, v0
.LBB11_5:                               ;   Parent Loop BB11_3 Depth=1
                                        ; =>  This Inner Loop Header: Depth=2
	global_load_dword v14, v1, s[24:25]
	v_mov_b32_e32 v15, s37
	s_waitcnt vmcnt(0)
	v_ashrrev_i32_e32 v16, 31, v14
	v_mul_hi_u32 v17, s18, v14
	v_mul_lo_u32 v16, s18, v16
	v_mul_lo_u32 v18, s19, v14
	;; [unrolled: 1-line block ×3, first 2 shown]
	v_add_u32_e32 v16, v17, v16
	v_add_u32_e32 v16, v16, v18
	v_add_co_u32_e32 v14, vcc, s36, v14
	v_addc_co_u32_e32 v15, vcc, v15, v16, vcc
	v_add_co_u32_e32 v14, vcc, v12, v14
	v_addc_co_u32_e32 v15, vcc, v13, v15, vcc
	global_load_dword v16, v[14:15], off
	v_add_co_u32_e32 v4, vcc, s8, v4
	v_addc_co_u32_e32 v5, vcc, 0, v5, vcc
	v_mov_b32_e32 v15, s37
	v_add_co_u32_e32 v14, vcc, s36, v10
	v_addc_co_u32_e32 v15, vcc, v11, v15, vcc
	v_cmp_le_i64_e32 vcc, s[42:43], v[4:5]
	s_add_u32 s36, s36, s30
	s_addc_u32 s37, s37, s31
	s_or_b64 s[34:35], vcc, s[34:35]
	s_waitcnt vmcnt(0)
	v_cvt_i32_f32_e32 v16, v16
	global_store_dword v[14:15], v16, off
	s_andn2_b64 exec, exec, s[34:35]
	s_cbranch_execnz .LBB11_5
	s_branch .LBB11_2
.LBB11_6:
	s_endpgm
	.section	.rodata,"a",@progbits
	.p2align	6, 0x0
	.amdhsa_kernel _ZL16k_get_rows_floatIfiEvPKT_PKiPT0_ll15HIP_vector_typeIjLj3EEmmmmmmmmm
		.amdhsa_group_segment_fixed_size 0
		.amdhsa_private_segment_fixed_size 0
		.amdhsa_kernarg_size 384
		.amdhsa_user_sgpr_count 6
		.amdhsa_user_sgpr_private_segment_buffer 1
		.amdhsa_user_sgpr_dispatch_ptr 0
		.amdhsa_user_sgpr_queue_ptr 0
		.amdhsa_user_sgpr_kernarg_segment_ptr 1
		.amdhsa_user_sgpr_dispatch_id 0
		.amdhsa_user_sgpr_flat_scratch_init 0
		.amdhsa_user_sgpr_private_segment_size 0
		.amdhsa_uses_dynamic_stack 0
		.amdhsa_system_sgpr_private_segment_wavefront_offset 0
		.amdhsa_system_sgpr_workgroup_id_x 1
		.amdhsa_system_sgpr_workgroup_id_y 1
		.amdhsa_system_sgpr_workgroup_id_z 1
		.amdhsa_system_sgpr_workgroup_info 0
		.amdhsa_system_vgpr_workitem_id 0
		.amdhsa_next_free_vgpr 19
		.amdhsa_next_free_sgpr 44
		.amdhsa_reserve_vcc 1
		.amdhsa_reserve_flat_scratch 0
		.amdhsa_float_round_mode_32 0
		.amdhsa_float_round_mode_16_64 0
		.amdhsa_float_denorm_mode_32 3
		.amdhsa_float_denorm_mode_16_64 3
		.amdhsa_dx10_clamp 1
		.amdhsa_ieee_mode 1
		.amdhsa_fp16_overflow 0
		.amdhsa_exception_fp_ieee_invalid_op 0
		.amdhsa_exception_fp_denorm_src 0
		.amdhsa_exception_fp_ieee_div_zero 0
		.amdhsa_exception_fp_ieee_overflow 0
		.amdhsa_exception_fp_ieee_underflow 0
		.amdhsa_exception_fp_ieee_inexact 0
		.amdhsa_exception_int_div_zero 0
	.end_amdhsa_kernel
	.section	.text._ZL16k_get_rows_floatIfiEvPKT_PKiPT0_ll15HIP_vector_typeIjLj3EEmmmmmmmmm,"axG",@progbits,_ZL16k_get_rows_floatIfiEvPKT_PKiPT0_ll15HIP_vector_typeIjLj3EEmmmmmmmmm,comdat
.Lfunc_end11:
	.size	_ZL16k_get_rows_floatIfiEvPKT_PKiPT0_ll15HIP_vector_typeIjLj3EEmmmmmmmmm, .Lfunc_end11-_ZL16k_get_rows_floatIfiEvPKT_PKiPT0_ll15HIP_vector_typeIjLj3EEmmmmmmmmm
                                        ; -- End function
	.set _ZL16k_get_rows_floatIfiEvPKT_PKiPT0_ll15HIP_vector_typeIjLj3EEmmmmmmmmm.num_vgpr, 19
	.set _ZL16k_get_rows_floatIfiEvPKT_PKiPT0_ll15HIP_vector_typeIjLj3EEmmmmmmmmm.num_agpr, 0
	.set _ZL16k_get_rows_floatIfiEvPKT_PKiPT0_ll15HIP_vector_typeIjLj3EEmmmmmmmmm.numbered_sgpr, 44
	.set _ZL16k_get_rows_floatIfiEvPKT_PKiPT0_ll15HIP_vector_typeIjLj3EEmmmmmmmmm.num_named_barrier, 0
	.set _ZL16k_get_rows_floatIfiEvPKT_PKiPT0_ll15HIP_vector_typeIjLj3EEmmmmmmmmm.private_seg_size, 0
	.set _ZL16k_get_rows_floatIfiEvPKT_PKiPT0_ll15HIP_vector_typeIjLj3EEmmmmmmmmm.uses_vcc, 1
	.set _ZL16k_get_rows_floatIfiEvPKT_PKiPT0_ll15HIP_vector_typeIjLj3EEmmmmmmmmm.uses_flat_scratch, 0
	.set _ZL16k_get_rows_floatIfiEvPKT_PKiPT0_ll15HIP_vector_typeIjLj3EEmmmmmmmmm.has_dyn_sized_stack, 0
	.set _ZL16k_get_rows_floatIfiEvPKT_PKiPT0_ll15HIP_vector_typeIjLj3EEmmmmmmmmm.has_recursion, 0
	.set _ZL16k_get_rows_floatIfiEvPKT_PKiPT0_ll15HIP_vector_typeIjLj3EEmmmmmmmmm.has_indirect_call, 0
	.section	.AMDGPU.csdata,"",@progbits
; Kernel info:
; codeLenInByte = 724
; TotalNumSgprs: 48
; NumVgprs: 19
; ScratchSize: 0
; MemoryBound: 0
; FloatMode: 240
; IeeeMode: 1
; LDSByteSize: 0 bytes/workgroup (compile time only)
; SGPRBlocks: 5
; VGPRBlocks: 4
; NumSGPRsForWavesPerEU: 48
; NumVGPRsForWavesPerEU: 19
; Occupancy: 10
; WaveLimiterHint : 1
; COMPUTE_PGM_RSRC2:SCRATCH_EN: 0
; COMPUTE_PGM_RSRC2:USER_SGPR: 6
; COMPUTE_PGM_RSRC2:TRAP_HANDLER: 0
; COMPUTE_PGM_RSRC2:TGID_X_EN: 1
; COMPUTE_PGM_RSRC2:TGID_Y_EN: 1
; COMPUTE_PGM_RSRC2:TGID_Z_EN: 1
; COMPUTE_PGM_RSRC2:TIDIG_COMP_CNT: 0
	.section	.text._ZL16k_get_rows_floatIiiEvPKT_PKiPT0_ll15HIP_vector_typeIjLj3EEmmmmmmmmm,"axG",@progbits,_ZL16k_get_rows_floatIiiEvPKT_PKiPT0_ll15HIP_vector_typeIjLj3EEmmmmmmmmm,comdat
	.globl	_ZL16k_get_rows_floatIiiEvPKT_PKiPT0_ll15HIP_vector_typeIjLj3EEmmmmmmmmm ; -- Begin function _ZL16k_get_rows_floatIiiEvPKT_PKiPT0_ll15HIP_vector_typeIjLj3EEmmmmmmmmm
	.p2align	8
	.type	_ZL16k_get_rows_floatIiiEvPKT_PKiPT0_ll15HIP_vector_typeIjLj3EEmmmmmmmmm,@function
_ZL16k_get_rows_floatIiiEvPKT_PKiPT0_ll15HIP_vector_typeIjLj3EEmmmmmmmmm: ; @_ZL16k_get_rows_floatIiiEvPKT_PKiPT0_ll15HIP_vector_typeIjLj3EEmmmmmmmmm
; %bb.0:
	s_load_dwordx2 s[0:1], s[4:5], 0x20
	s_load_dwordx2 s[2:3], s[4:5], 0x2c
	s_mov_b32 s9, 0
	v_mov_b32_e32 v1, s8
	v_mov_b32_e32 v2, s9
	s_waitcnt lgkmcnt(0)
	s_mul_i32 s1, s1, s3
	s_mul_hi_u32 s10, s0, s3
	s_add_i32 s31, s10, s1
	s_mul_i32 s30, s0, s3
	v_cmp_le_i64_e32 vcc, s[30:31], v[1:2]
	s_cbranch_vccnz .LBB12_6
; %bb.1:
	s_load_dwordx8 s[36:43], s[4:5], 0x0
	s_load_dwordx2 s[10:11], s[4:5], 0x78
	s_load_dwordx2 s[28:29], s[4:5], 0x88
	s_load_dword s33, s[4:5], 0x28
	s_load_dwordx16 s[12:27], s[4:5], 0x38
	s_add_u32 s4, s4, 0x80
	s_addc_u32 s5, s5, 0
	s_waitcnt lgkmcnt(0)
	s_and_b32 s29, s29, 0xffff
	s_mul_i32 s7, s7, s29
	v_add_u32_e32 v0, s7, v0
	s_ashr_i32 s7, s6, 31
	s_mul_hi_u32 s34, s24, s6
	s_mul_i32 s35, s24, s7
	s_add_i32 s34, s34, s35
	s_mul_i32 s25, s25, s6
	s_add_i32 s25, s34, s25
	s_mul_i32 s24, s24, s6
	s_lshl_b64 s[24:25], s[24:25], 2
	s_add_u32 s38, s38, s24
	s_mul_hi_u32 s24, s12, s6
	s_mul_i32 s7, s12, s7
	s_addc_u32 s39, s39, s25
	s_add_i32 s7, s24, s7
	s_mul_i32 s13, s13, s6
	s_add_i32 s7, s7, s13
	s_mul_i32 s6, s12, s6
	v_mov_b32_e32 v1, 0
	s_lshl_b64 s[6:7], s[6:7], 2
	v_lshlrev_b64 v[2:3], 2, v[0:1]
	s_add_u32 s6, s40, s6
	s_addc_u32 s7, s41, s7
	v_mov_b32_e32 v4, s7
	v_add_co_u32_e32 v6, vcc, s6, v2
	v_addc_co_u32_e32 v7, vcc, v4, v3, vcc
	v_mov_b32_e32 v4, s37
	v_add_co_u32_e32 v8, vcc, s36, v2
	v_cmp_gt_i64_e64 s[0:1], s[42:43], v[0:1]
	v_addc_co_u32_e32 v9, vcc, v4, v3, vcc
	v_mov_b32_e32 v2, s30
	s_lshl_b64 s[6:7], s[14:15], 2
	s_lshl_b64 s[12:13], s[16:17], 2
	v_mov_b32_e32 v3, s31
	s_mov_b64 s[14:15], s[8:9]
	s_branch .LBB12_3
.LBB12_2:                               ;   in Loop: Header=BB12_3 Depth=1
	s_or_b64 exec, exec, s[16:17]
	s_add_u32 s14, s14, s28
	s_addc_u32 s15, s15, 0
	v_cmp_lt_i64_e32 vcc, s[14:15], v[2:3]
	s_cbranch_vccz .LBB12_6
.LBB12_3:                               ; =>This Loop Header: Depth=1
                                        ;     Child Loop BB12_5 Depth 2
	s_and_saveexec_b64 s[16:17], s[0:1]
	s_cbranch_execz .LBB12_2
; %bb.4:                                ;   in Loop: Header=BB12_3 Depth=1
	s_mul_hi_u32 s8, s14, s33
	s_add_i32 s8, s8, s14
	s_lshr_b32 s34, s8, s2
	s_mul_i32 s8, s34, s3
	s_ashr_i32 s36, s34, 31
	s_sub_i32 s35, s14, s8
	s_mul_i32 s8, s26, s36
	s_mul_hi_u32 s24, s26, s34
	s_add_i32 s8, s24, s8
	s_mul_i32 s24, s27, s34
	s_ashr_i32 s37, s35, 31
	s_add_i32 s25, s8, s24
	s_mul_i32 s8, s10, s37
	s_mul_hi_u32 s30, s10, s35
	s_mul_i32 s24, s26, s34
	s_add_i32 s8, s30, s8
	s_mul_i32 s30, s11, s35
	s_add_i32 s31, s8, s30
	s_lshl_b64 s[24:25], s[24:25], 2
	s_mul_i32 s30, s10, s35
	s_add_u32 s8, s38, s24
	s_addc_u32 s40, s39, s25
	s_lshl_b64 s[24:25], s[30:31], 2
	s_load_dword s31, s[4:5], 0x4
	s_add_u32 s24, s8, s24
	s_mul_i32 s8, s20, s36
	s_mul_hi_u32 s30, s20, s34
	s_addc_u32 s25, s40, s25
	s_add_i32 s8, s30, s8
	s_mul_i32 s30, s21, s34
	s_add_i32 s40, s8, s30
	s_waitcnt lgkmcnt(0)
	s_mul_i32 s8, s31, s29
	s_mul_i32 s30, s6, s36
	s_mul_hi_u32 s31, s6, s34
	s_add_i32 s30, s31, s30
	s_mul_i32 s31, s7, s34
	s_mul_i32 s41, s20, s34
	s_add_i32 s30, s30, s31
	s_mul_i32 s31, s6, s34
	s_mul_i32 s34, s12, s37
	s_mul_hi_u32 s36, s12, s35
	s_add_i32 s34, s36, s34
	s_mul_i32 s36, s13, s35
	s_add_i32 s34, s34, s36
	s_mul_i32 s36, s12, s35
	s_add_u32 s31, s31, s36
	s_addc_u32 s30, s30, s34
	s_mul_i32 s34, s22, s37
	s_mul_hi_u32 s36, s22, s35
	s_add_i32 s34, s36, s34
	s_mul_i32 s36, s23, s35
	v_mov_b32_e32 v4, s30
	v_add_co_u32_e32 v10, vcc, s31, v6
	s_lshl_b64 s[30:31], s[8:9], 2
	s_add_i32 s34, s34, s36
	s_mul_i32 s35, s22, s35
	s_add_u32 s35, s41, s35
	v_addc_co_u32_e32 v11, vcc, v7, v4, vcc
	s_addc_u32 s34, s40, s34
	v_mov_b32_e32 v4, s34
	v_add_co_u32_e32 v12, vcc, s35, v8
	v_addc_co_u32_e32 v13, vcc, v9, v4, vcc
	v_mov_b32_e32 v5, v1
	s_mov_b64 s[34:35], 0
	s_mov_b64 s[36:37], 0
	v_mov_b32_e32 v4, v0
.LBB12_5:                               ;   Parent Loop BB12_3 Depth=1
                                        ; =>  This Inner Loop Header: Depth=2
	global_load_dword v14, v1, s[24:25]
	v_mov_b32_e32 v15, s37
	s_waitcnt vmcnt(0)
	v_ashrrev_i32_e32 v16, 31, v14
	v_mul_hi_u32 v17, s18, v14
	v_mul_lo_u32 v16, s18, v16
	v_mul_lo_u32 v18, s19, v14
	;; [unrolled: 1-line block ×3, first 2 shown]
	v_add_u32_e32 v16, v17, v16
	v_add_u32_e32 v16, v16, v18
	v_add_co_u32_e32 v14, vcc, s36, v14
	v_addc_co_u32_e32 v15, vcc, v15, v16, vcc
	v_add_co_u32_e32 v14, vcc, v12, v14
	v_addc_co_u32_e32 v15, vcc, v13, v15, vcc
	global_load_dword v16, v[14:15], off
	v_add_co_u32_e32 v4, vcc, s8, v4
	v_addc_co_u32_e32 v5, vcc, 0, v5, vcc
	v_mov_b32_e32 v15, s37
	v_add_co_u32_e32 v14, vcc, s36, v10
	v_addc_co_u32_e32 v15, vcc, v11, v15, vcc
	v_cmp_le_i64_e32 vcc, s[42:43], v[4:5]
	s_add_u32 s36, s36, s30
	s_addc_u32 s37, s37, s31
	s_or_b64 s[34:35], vcc, s[34:35]
	s_waitcnt vmcnt(0)
	global_store_dword v[14:15], v16, off
	s_andn2_b64 exec, exec, s[34:35]
	s_cbranch_execnz .LBB12_5
	s_branch .LBB12_2
.LBB12_6:
	s_endpgm
	.section	.rodata,"a",@progbits
	.p2align	6, 0x0
	.amdhsa_kernel _ZL16k_get_rows_floatIiiEvPKT_PKiPT0_ll15HIP_vector_typeIjLj3EEmmmmmmmmm
		.amdhsa_group_segment_fixed_size 0
		.amdhsa_private_segment_fixed_size 0
		.amdhsa_kernarg_size 384
		.amdhsa_user_sgpr_count 6
		.amdhsa_user_sgpr_private_segment_buffer 1
		.amdhsa_user_sgpr_dispatch_ptr 0
		.amdhsa_user_sgpr_queue_ptr 0
		.amdhsa_user_sgpr_kernarg_segment_ptr 1
		.amdhsa_user_sgpr_dispatch_id 0
		.amdhsa_user_sgpr_flat_scratch_init 0
		.amdhsa_user_sgpr_private_segment_size 0
		.amdhsa_uses_dynamic_stack 0
		.amdhsa_system_sgpr_private_segment_wavefront_offset 0
		.amdhsa_system_sgpr_workgroup_id_x 1
		.amdhsa_system_sgpr_workgroup_id_y 1
		.amdhsa_system_sgpr_workgroup_id_z 1
		.amdhsa_system_sgpr_workgroup_info 0
		.amdhsa_system_vgpr_workitem_id 0
		.amdhsa_next_free_vgpr 19
		.amdhsa_next_free_sgpr 44
		.amdhsa_reserve_vcc 1
		.amdhsa_reserve_flat_scratch 0
		.amdhsa_float_round_mode_32 0
		.amdhsa_float_round_mode_16_64 0
		.amdhsa_float_denorm_mode_32 3
		.amdhsa_float_denorm_mode_16_64 3
		.amdhsa_dx10_clamp 1
		.amdhsa_ieee_mode 1
		.amdhsa_fp16_overflow 0
		.amdhsa_exception_fp_ieee_invalid_op 0
		.amdhsa_exception_fp_denorm_src 0
		.amdhsa_exception_fp_ieee_div_zero 0
		.amdhsa_exception_fp_ieee_overflow 0
		.amdhsa_exception_fp_ieee_underflow 0
		.amdhsa_exception_fp_ieee_inexact 0
		.amdhsa_exception_int_div_zero 0
	.end_amdhsa_kernel
	.section	.text._ZL16k_get_rows_floatIiiEvPKT_PKiPT0_ll15HIP_vector_typeIjLj3EEmmmmmmmmm,"axG",@progbits,_ZL16k_get_rows_floatIiiEvPKT_PKiPT0_ll15HIP_vector_typeIjLj3EEmmmmmmmmm,comdat
.Lfunc_end12:
	.size	_ZL16k_get_rows_floatIiiEvPKT_PKiPT0_ll15HIP_vector_typeIjLj3EEmmmmmmmmm, .Lfunc_end12-_ZL16k_get_rows_floatIiiEvPKT_PKiPT0_ll15HIP_vector_typeIjLj3EEmmmmmmmmm
                                        ; -- End function
	.set _ZL16k_get_rows_floatIiiEvPKT_PKiPT0_ll15HIP_vector_typeIjLj3EEmmmmmmmmm.num_vgpr, 19
	.set _ZL16k_get_rows_floatIiiEvPKT_PKiPT0_ll15HIP_vector_typeIjLj3EEmmmmmmmmm.num_agpr, 0
	.set _ZL16k_get_rows_floatIiiEvPKT_PKiPT0_ll15HIP_vector_typeIjLj3EEmmmmmmmmm.numbered_sgpr, 44
	.set _ZL16k_get_rows_floatIiiEvPKT_PKiPT0_ll15HIP_vector_typeIjLj3EEmmmmmmmmm.num_named_barrier, 0
	.set _ZL16k_get_rows_floatIiiEvPKT_PKiPT0_ll15HIP_vector_typeIjLj3EEmmmmmmmmm.private_seg_size, 0
	.set _ZL16k_get_rows_floatIiiEvPKT_PKiPT0_ll15HIP_vector_typeIjLj3EEmmmmmmmmm.uses_vcc, 1
	.set _ZL16k_get_rows_floatIiiEvPKT_PKiPT0_ll15HIP_vector_typeIjLj3EEmmmmmmmmm.uses_flat_scratch, 0
	.set _ZL16k_get_rows_floatIiiEvPKT_PKiPT0_ll15HIP_vector_typeIjLj3EEmmmmmmmmm.has_dyn_sized_stack, 0
	.set _ZL16k_get_rows_floatIiiEvPKT_PKiPT0_ll15HIP_vector_typeIjLj3EEmmmmmmmmm.has_recursion, 0
	.set _ZL16k_get_rows_floatIiiEvPKT_PKiPT0_ll15HIP_vector_typeIjLj3EEmmmmmmmmm.has_indirect_call, 0
	.section	.AMDGPU.csdata,"",@progbits
; Kernel info:
; codeLenInByte = 720
; TotalNumSgprs: 48
; NumVgprs: 19
; ScratchSize: 0
; MemoryBound: 0
; FloatMode: 240
; IeeeMode: 1
; LDSByteSize: 0 bytes/workgroup (compile time only)
; SGPRBlocks: 5
; VGPRBlocks: 4
; NumSGPRsForWavesPerEU: 48
; NumVGPRsForWavesPerEU: 19
; Occupancy: 10
; WaveLimiterHint : 1
; COMPUTE_PGM_RSRC2:SCRATCH_EN: 0
; COMPUTE_PGM_RSRC2:USER_SGPR: 6
; COMPUTE_PGM_RSRC2:TRAP_HANDLER: 0
; COMPUTE_PGM_RSRC2:TGID_X_EN: 1
; COMPUTE_PGM_RSRC2:TGID_Y_EN: 1
; COMPUTE_PGM_RSRC2:TGID_Z_EN: 1
; COMPUTE_PGM_RSRC2:TIDIG_COMP_CNT: 0
	.section	.text._ZL16k_get_rows_floatI14__hip_bfloat16iEvPKT_PKiPT0_ll15HIP_vector_typeIjLj3EEmmmmmmmmm,"axG",@progbits,_ZL16k_get_rows_floatI14__hip_bfloat16iEvPKT_PKiPT0_ll15HIP_vector_typeIjLj3EEmmmmmmmmm,comdat
	.globl	_ZL16k_get_rows_floatI14__hip_bfloat16iEvPKT_PKiPT0_ll15HIP_vector_typeIjLj3EEmmmmmmmmm ; -- Begin function _ZL16k_get_rows_floatI14__hip_bfloat16iEvPKT_PKiPT0_ll15HIP_vector_typeIjLj3EEmmmmmmmmm
	.p2align	8
	.type	_ZL16k_get_rows_floatI14__hip_bfloat16iEvPKT_PKiPT0_ll15HIP_vector_typeIjLj3EEmmmmmmmmm,@function
_ZL16k_get_rows_floatI14__hip_bfloat16iEvPKT_PKiPT0_ll15HIP_vector_typeIjLj3EEmmmmmmmmm: ; @_ZL16k_get_rows_floatI14__hip_bfloat16iEvPKT_PKiPT0_ll15HIP_vector_typeIjLj3EEmmmmmmmmm
; %bb.0:
	s_load_dwordx2 s[0:1], s[4:5], 0x20
	s_load_dwordx2 s[2:3], s[4:5], 0x2c
	s_mov_b32 s9, 0
	v_mov_b32_e32 v1, s8
	v_mov_b32_e32 v2, s9
	s_waitcnt lgkmcnt(0)
	s_mul_i32 s1, s1, s3
	s_mul_hi_u32 s10, s0, s3
	s_add_i32 s11, s10, s1
	s_mul_i32 s10, s0, s3
	v_cmp_le_i64_e32 vcc, s[10:11], v[1:2]
	s_cbranch_vccnz .LBB13_6
; %bb.1:
	s_load_dwordx8 s[36:43], s[4:5], 0x0
	s_load_dwordx2 s[28:29], s[4:5], 0x78
	s_load_dwordx2 s[30:31], s[4:5], 0x88
	s_load_dword s33, s[4:5], 0x28
	s_load_dwordx16 s[12:27], s[4:5], 0x38
	s_add_u32 s4, s4, 0x80
	s_addc_u32 s5, s5, 0
	s_waitcnt lgkmcnt(0)
	s_and_b32 s31, s31, 0xffff
	s_mul_i32 s7, s7, s31
	v_add_u32_e32 v0, s7, v0
	s_ashr_i32 s7, s6, 31
	s_mul_hi_u32 s34, s24, s6
	s_mul_i32 s35, s24, s7
	s_add_i32 s34, s34, s35
	s_mul_i32 s25, s25, s6
	s_add_i32 s25, s34, s25
	s_mul_i32 s24, s24, s6
	s_lshl_b64 s[24:25], s[24:25], 2
	s_add_u32 s44, s38, s24
	s_mul_hi_u32 s24, s12, s6
	s_mul_i32 s7, s12, s7
	s_addc_u32 s45, s39, s25
	s_add_i32 s7, s24, s7
	s_mul_i32 s13, s13, s6
	s_add_i32 s7, s7, s13
	s_mul_i32 s6, s12, s6
	v_mov_b32_e32 v1, 0
	s_lshl_b64 s[6:7], s[6:7], 2
	v_lshlrev_b64 v[2:3], 2, v[0:1]
	s_add_u32 s6, s40, s6
	s_addc_u32 s7, s41, s7
	v_mov_b32_e32 v4, s7
	v_add_co_u32_e32 v8, vcc, s6, v2
	v_addc_co_u32_e32 v9, vcc, v4, v3, vcc
	v_lshlrev_b64 v[2:3], 1, v[0:1]
	v_cmp_gt_i64_e64 s[0:1], s[42:43], v[0:1]
	v_mov_b32_e32 v4, s37
	v_add_co_u32_e32 v10, vcc, s36, v2
	s_lshl_b64 s[6:7], s[14:15], 2
	s_lshl_b64 s[12:13], s[16:17], 2
	v_addc_co_u32_e32 v11, vcc, v4, v3, vcc
	s_mov_b64 s[14:15], s[8:9]
	s_branch .LBB13_3
.LBB13_2:                               ;   in Loop: Header=BB13_3 Depth=1
	s_or_b64 exec, exec, s[16:17]
	s_add_u32 s14, s14, s30
	v_mov_b32_e32 v2, s10
	s_addc_u32 s15, s15, 0
	v_mov_b32_e32 v3, s11
	v_cmp_lt_i64_e32 vcc, s[14:15], v[2:3]
	s_cbranch_vccz .LBB13_6
.LBB13_3:                               ; =>This Loop Header: Depth=1
                                        ;     Child Loop BB13_5 Depth 2
	s_and_saveexec_b64 s[16:17], s[0:1]
	s_cbranch_execz .LBB13_2
; %bb.4:                                ;   in Loop: Header=BB13_3 Depth=1
	s_mul_hi_u32 s8, s14, s33
	s_add_i32 s8, s8, s14
	s_lshr_b32 s36, s8, s2
	s_mul_i32 s8, s36, s3
	s_ashr_i32 s38, s36, 31
	s_sub_i32 s37, s14, s8
	s_mul_i32 s8, s26, s38
	s_mul_hi_u32 s24, s26, s36
	s_add_i32 s8, s24, s8
	s_mul_i32 s24, s27, s36
	s_ashr_i32 s39, s37, 31
	s_add_i32 s25, s8, s24
	s_mul_i32 s8, s28, s39
	s_mul_hi_u32 s34, s28, s37
	s_mul_i32 s24, s26, s36
	s_add_i32 s8, s34, s8
	s_mul_i32 s34, s29, s37
	s_add_i32 s35, s8, s34
	s_lshl_b64 s[24:25], s[24:25], 2
	s_mul_i32 s34, s28, s37
	s_add_u32 s8, s44, s24
	s_addc_u32 s40, s45, s25
	s_lshl_b64 s[24:25], s[34:35], 2
	s_load_dword s35, s[4:5], 0x4
	s_add_u32 s24, s8, s24
	s_mul_i32 s8, s20, s38
	s_mul_hi_u32 s34, s20, s36
	s_addc_u32 s25, s40, s25
	s_add_i32 s8, s34, s8
	s_mul_i32 s34, s21, s36
	s_add_i32 s40, s8, s34
	s_waitcnt lgkmcnt(0)
	s_mul_i32 s8, s35, s31
	s_mul_i32 s34, s6, s38
	s_mul_hi_u32 s35, s6, s36
	s_add_i32 s34, s35, s34
	s_mul_i32 s35, s7, s36
	s_mul_i32 s41, s20, s36
	s_add_i32 s34, s34, s35
	s_mul_i32 s35, s6, s36
	s_mul_i32 s36, s12, s39
	s_mul_hi_u32 s38, s12, s37
	s_add_i32 s36, s38, s36
	s_mul_i32 s38, s13, s37
	s_add_i32 s36, s36, s38
	s_mul_i32 s38, s12, s37
	s_add_u32 s35, s35, s38
	s_addc_u32 s34, s34, s36
	s_mul_i32 s36, s22, s39
	s_mul_hi_u32 s38, s22, s37
	s_add_i32 s36, s38, s36
	s_mul_i32 s38, s23, s37
	v_mov_b32_e32 v3, s34
	v_add_co_u32_e32 v2, vcc, s35, v8
	s_lshl_b64 s[34:35], s[8:9], 2
	s_add_i32 s36, s36, s38
	s_mul_i32 s37, s22, s37
	s_add_u32 s37, s41, s37
	v_addc_co_u32_e32 v3, vcc, v9, v3, vcc
	s_addc_u32 s36, s40, s36
	v_mov_b32_e32 v5, s36
	v_add_co_u32_e32 v4, vcc, s37, v10
	s_lshl_b64 s[36:37], s[8:9], 1
	v_mov_b32_e32 v7, v1
	v_addc_co_u32_e32 v5, vcc, v11, v5, vcc
	s_mov_b64 s[38:39], 0
	v_mov_b32_e32 v12, s35
	v_mov_b32_e32 v13, s37
	;; [unrolled: 1-line block ×3, first 2 shown]
.LBB13_5:                               ;   Parent Loop BB13_3 Depth=1
                                        ; =>  This Inner Loop Header: Depth=2
	global_load_dword v14, v1, s[24:25]
	v_add_co_u32_e32 v6, vcc, s8, v6
	v_addc_co_u32_e32 v7, vcc, 0, v7, vcc
	v_cmp_le_i64_e32 vcc, s[42:43], v[6:7]
	s_or_b64 s[38:39], vcc, s[38:39]
	s_waitcnt vmcnt(0)
	v_ashrrev_i32_e32 v16, 31, v14
	v_mul_lo_u32 v17, s19, v14
	v_mul_lo_u32 v16, s18, v16
	v_mad_u64_u32 v[14:15], s[40:41], s18, v14, v[4:5]
	v_add_co_u32_e32 v4, vcc, s36, v4
	v_add_u32_e32 v16, v16, v17
	v_add_u32_e32 v15, v16, v15
	global_load_ushort v14, v[14:15], off
	v_addc_co_u32_e32 v5, vcc, v5, v13, vcc
	s_waitcnt vmcnt(0)
	v_lshlrev_b32_e32 v14, 16, v14
	v_cvt_i32_f32_e32 v14, v14
	global_store_dword v[2:3], v14, off
	v_add_co_u32_e32 v2, vcc, s34, v2
	v_addc_co_u32_e32 v3, vcc, v3, v12, vcc
	s_andn2_b64 exec, exec, s[38:39]
	s_cbranch_execnz .LBB13_5
	s_branch .LBB13_2
.LBB13_6:
	s_endpgm
	.section	.rodata,"a",@progbits
	.p2align	6, 0x0
	.amdhsa_kernel _ZL16k_get_rows_floatI14__hip_bfloat16iEvPKT_PKiPT0_ll15HIP_vector_typeIjLj3EEmmmmmmmmm
		.amdhsa_group_segment_fixed_size 0
		.amdhsa_private_segment_fixed_size 0
		.amdhsa_kernarg_size 384
		.amdhsa_user_sgpr_count 6
		.amdhsa_user_sgpr_private_segment_buffer 1
		.amdhsa_user_sgpr_dispatch_ptr 0
		.amdhsa_user_sgpr_queue_ptr 0
		.amdhsa_user_sgpr_kernarg_segment_ptr 1
		.amdhsa_user_sgpr_dispatch_id 0
		.amdhsa_user_sgpr_flat_scratch_init 0
		.amdhsa_user_sgpr_private_segment_size 0
		.amdhsa_uses_dynamic_stack 0
		.amdhsa_system_sgpr_private_segment_wavefront_offset 0
		.amdhsa_system_sgpr_workgroup_id_x 1
		.amdhsa_system_sgpr_workgroup_id_y 1
		.amdhsa_system_sgpr_workgroup_id_z 1
		.amdhsa_system_sgpr_workgroup_info 0
		.amdhsa_system_vgpr_workitem_id 0
		.amdhsa_next_free_vgpr 18
		.amdhsa_next_free_sgpr 46
		.amdhsa_reserve_vcc 1
		.amdhsa_reserve_flat_scratch 0
		.amdhsa_float_round_mode_32 0
		.amdhsa_float_round_mode_16_64 0
		.amdhsa_float_denorm_mode_32 3
		.amdhsa_float_denorm_mode_16_64 3
		.amdhsa_dx10_clamp 1
		.amdhsa_ieee_mode 1
		.amdhsa_fp16_overflow 0
		.amdhsa_exception_fp_ieee_invalid_op 0
		.amdhsa_exception_fp_denorm_src 0
		.amdhsa_exception_fp_ieee_div_zero 0
		.amdhsa_exception_fp_ieee_overflow 0
		.amdhsa_exception_fp_ieee_underflow 0
		.amdhsa_exception_fp_ieee_inexact 0
		.amdhsa_exception_int_div_zero 0
	.end_amdhsa_kernel
	.section	.text._ZL16k_get_rows_floatI14__hip_bfloat16iEvPKT_PKiPT0_ll15HIP_vector_typeIjLj3EEmmmmmmmmm,"axG",@progbits,_ZL16k_get_rows_floatI14__hip_bfloat16iEvPKT_PKiPT0_ll15HIP_vector_typeIjLj3EEmmmmmmmmm,comdat
.Lfunc_end13:
	.size	_ZL16k_get_rows_floatI14__hip_bfloat16iEvPKT_PKiPT0_ll15HIP_vector_typeIjLj3EEmmmmmmmmm, .Lfunc_end13-_ZL16k_get_rows_floatI14__hip_bfloat16iEvPKT_PKiPT0_ll15HIP_vector_typeIjLj3EEmmmmmmmmm
                                        ; -- End function
	.set _ZL16k_get_rows_floatI14__hip_bfloat16iEvPKT_PKiPT0_ll15HIP_vector_typeIjLj3EEmmmmmmmmm.num_vgpr, 18
	.set _ZL16k_get_rows_floatI14__hip_bfloat16iEvPKT_PKiPT0_ll15HIP_vector_typeIjLj3EEmmmmmmmmm.num_agpr, 0
	.set _ZL16k_get_rows_floatI14__hip_bfloat16iEvPKT_PKiPT0_ll15HIP_vector_typeIjLj3EEmmmmmmmmm.numbered_sgpr, 46
	.set _ZL16k_get_rows_floatI14__hip_bfloat16iEvPKT_PKiPT0_ll15HIP_vector_typeIjLj3EEmmmmmmmmm.num_named_barrier, 0
	.set _ZL16k_get_rows_floatI14__hip_bfloat16iEvPKT_PKiPT0_ll15HIP_vector_typeIjLj3EEmmmmmmmmm.private_seg_size, 0
	.set _ZL16k_get_rows_floatI14__hip_bfloat16iEvPKT_PKiPT0_ll15HIP_vector_typeIjLj3EEmmmmmmmmm.uses_vcc, 1
	.set _ZL16k_get_rows_floatI14__hip_bfloat16iEvPKT_PKiPT0_ll15HIP_vector_typeIjLj3EEmmmmmmmmm.uses_flat_scratch, 0
	.set _ZL16k_get_rows_floatI14__hip_bfloat16iEvPKT_PKiPT0_ll15HIP_vector_typeIjLj3EEmmmmmmmmm.has_dyn_sized_stack, 0
	.set _ZL16k_get_rows_floatI14__hip_bfloat16iEvPKT_PKiPT0_ll15HIP_vector_typeIjLj3EEmmmmmmmmm.has_recursion, 0
	.set _ZL16k_get_rows_floatI14__hip_bfloat16iEvPKT_PKiPT0_ll15HIP_vector_typeIjLj3EEmmmmmmmmm.has_indirect_call, 0
	.section	.AMDGPU.csdata,"",@progbits
; Kernel info:
; codeLenInByte = 712
; TotalNumSgprs: 50
; NumVgprs: 18
; ScratchSize: 0
; MemoryBound: 0
; FloatMode: 240
; IeeeMode: 1
; LDSByteSize: 0 bytes/workgroup (compile time only)
; SGPRBlocks: 6
; VGPRBlocks: 4
; NumSGPRsForWavesPerEU: 50
; NumVGPRsForWavesPerEU: 18
; Occupancy: 10
; WaveLimiterHint : 1
; COMPUTE_PGM_RSRC2:SCRATCH_EN: 0
; COMPUTE_PGM_RSRC2:USER_SGPR: 6
; COMPUTE_PGM_RSRC2:TRAP_HANDLER: 0
; COMPUTE_PGM_RSRC2:TGID_X_EN: 1
; COMPUTE_PGM_RSRC2:TGID_Y_EN: 1
; COMPUTE_PGM_RSRC2:TGID_Z_EN: 1
; COMPUTE_PGM_RSRC2:TIDIG_COMP_CNT: 0
	.section	.text._ZL10k_get_rowsILi128ELi1EXadL_ZL15dequantize_q1_0PKvliR15HIP_vector_typeIfLj2EEEEiEvS1_PKiPT2_llS2_IjLj3EEmmmmmmmmm,"axG",@progbits,_ZL10k_get_rowsILi128ELi1EXadL_ZL15dequantize_q1_0PKvliR15HIP_vector_typeIfLj2EEEEiEvS1_PKiPT2_llS2_IjLj3EEmmmmmmmmm,comdat
	.globl	_ZL10k_get_rowsILi128ELi1EXadL_ZL15dequantize_q1_0PKvliR15HIP_vector_typeIfLj2EEEEiEvS1_PKiPT2_llS2_IjLj3EEmmmmmmmmm ; -- Begin function _ZL10k_get_rowsILi128ELi1EXadL_ZL15dequantize_q1_0PKvliR15HIP_vector_typeIfLj2EEEEiEvS1_PKiPT2_llS2_IjLj3EEmmmmmmmmm
	.p2align	8
	.type	_ZL10k_get_rowsILi128ELi1EXadL_ZL15dequantize_q1_0PKvliR15HIP_vector_typeIfLj2EEEEiEvS1_PKiPT2_llS2_IjLj3EEmmmmmmmmm,@function
_ZL10k_get_rowsILi128ELi1EXadL_ZL15dequantize_q1_0PKvliR15HIP_vector_typeIfLj2EEEEiEvS1_PKiPT2_llS2_IjLj3EEmmmmmmmmm: ; @_ZL10k_get_rowsILi128ELi1EXadL_ZL15dequantize_q1_0PKvliR15HIP_vector_typeIfLj2EEEEiEvS1_PKiPT2_llS2_IjLj3EEmmmmmmmmm
; %bb.0:
	s_load_dwordx4 s[28:31], s[4:5], 0x18
	s_load_dwordx2 s[10:11], s[4:5], 0x2c
	s_mov_b32 s9, 0
	v_mov_b32_e32 v1, s8
	v_mov_b32_e32 v2, s9
	s_waitcnt lgkmcnt(0)
	s_mul_i32 s0, s31, s11
	s_mul_hi_u32 s1, s30, s11
	s_add_i32 s31, s1, s0
	s_mul_i32 s30, s30, s11
	v_cmp_le_i64_e32 vcc, s[30:31], v[1:2]
	s_cbranch_vccnz .LBB14_6
; %bb.1:
	s_load_dwordx4 s[36:39], s[4:5], 0x0
	s_load_dwordx2 s[2:3], s[4:5], 0x10
	s_load_dwordx2 s[34:35], s[4:5], 0x78
	;; [unrolled: 1-line block ×3, first 2 shown]
	s_load_dword s33, s[4:5], 0x28
	s_load_dwordx16 s[12:27], s[4:5], 0x38
	s_add_u32 s4, s4, 0x80
	s_addc_u32 s5, s5, 0
	s_waitcnt lgkmcnt(0)
	s_and_b32 s41, s41, 0xffff
	s_mul_i32 s7, s7, s41
	v_add_lshl_u32 v0, s7, v0, 1
	s_ashr_i32 s7, s6, 31
	s_mul_hi_u32 s42, s24, s6
	s_mul_i32 s43, s24, s7
	s_add_i32 s42, s42, s43
	s_mul_i32 s25, s25, s6
	s_add_i32 s25, s42, s25
	s_mul_i32 s24, s24, s6
	s_lshl_b64 s[24:25], s[24:25], 2
	s_add_u32 s44, s38, s24
	s_mul_hi_u32 s24, s12, s6
	s_mul_i32 s7, s12, s7
	s_addc_u32 s45, s39, s25
	s_add_i32 s7, s24, s7
	s_mul_i32 s13, s13, s6
	s_add_i32 s7, s7, s13
	s_mul_i32 s6, s12, s6
	v_mov_b32_e32 v1, 0
	s_lshl_b64 s[6:7], s[6:7], 2
	v_cmp_gt_i64_e64 s[0:1], s[28:29], v[0:1]
	s_add_u32 s46, s2, s6
	v_lshlrev_b64 v[2:3], 25, v[0:1]
	s_addc_u32 s47, s3, s7
	v_mov_b32_e32 v4, v1
	v_mov_b32_e32 v5, v0
	s_mov_b64 s[6:7], s[8:9]
	s_branch .LBB14_3
.LBB14_2:                               ;   in Loop: Header=BB14_3 Depth=1
	s_or_b64 exec, exec, s[12:13]
	s_add_u32 s6, s6, s40
	v_mov_b32_e32 v6, s30
	s_addc_u32 s7, s7, 0
	v_mov_b32_e32 v7, s31
	v_cmp_ge_i64_e32 vcc, s[6:7], v[6:7]
	s_cbranch_vccnz .LBB14_6
.LBB14_3:                               ; =>This Loop Header: Depth=1
                                        ;     Child Loop BB14_5 Depth 2
	s_and_saveexec_b64 s[12:13], s[0:1]
	s_cbranch_execz .LBB14_2
; %bb.4:                                ;   in Loop: Header=BB14_3 Depth=1
	s_mul_hi_u32 s2, s6, s33
	s_add_i32 s2, s2, s6
	s_lshr_b32 s8, s2, s10
	s_mul_i32 s2, s8, s11
	s_sub_i32 s38, s6, s2
	s_ashr_i32 s39, s8, 31
	s_mul_i32 s2, s26, s39
	s_mul_hi_u32 s3, s26, s8
	s_ashr_i32 s42, s38, 31
	s_add_i32 s2, s3, s2
	s_mul_i32 s3, s27, s8
	s_mul_i32 s24, s34, s42
	s_mul_hi_u32 s25, s34, s38
	s_add_i32 s3, s2, s3
	s_mul_i32 s2, s26, s8
	s_add_i32 s24, s25, s24
	s_mul_i32 s25, s35, s38
	s_add_i32 s25, s24, s25
	s_lshl_b64 s[2:3], s[2:3], 2
	s_mul_i32 s24, s34, s38
	s_add_u32 s43, s44, s2
	s_addc_u32 s48, s45, s3
	s_lshl_b64 s[2:3], s[24:25], 2
	s_add_u32 s2, s43, s2
	s_addc_u32 s3, s48, s3
	s_load_dword s24, s[2:3], 0x0
	s_mul_i32 s2, s14, s39
	s_mul_hi_u32 s3, s14, s8
	s_add_i32 s2, s3, s2
	s_mul_i32 s3, s15, s8
	s_add_i32 s3, s2, s3
	s_mul_i32 s2, s14, s8
	s_waitcnt lgkmcnt(0)
	s_ashr_i32 s25, s24, 31
	s_lshl_b64 s[2:3], s[2:3], 2
	s_add_u32 s43, s46, s2
	s_addc_u32 s49, s47, s3
	s_mul_i32 s2, s16, s42
	s_mul_hi_u32 s3, s16, s38
	s_add_i32 s2, s3, s2
	s_mul_i32 s3, s17, s38
	s_add_i32 s3, s2, s3
	s_mul_i32 s2, s16, s38
	s_lshl_b64 s[2:3], s[2:3], 2
	s_add_u32 s48, s43, s2
	s_addc_u32 s2, s49, s3
	s_mul_i32 s3, s18, s25
	s_mul_hi_u32 s25, s18, s24
	s_add_i32 s3, s25, s3
	s_mul_i32 s25, s19, s24
	s_add_i32 s3, s3, s25
	s_mul_i32 s24, s18, s24
	s_add_u32 s24, s36, s24
	s_mul_i32 s25, s20, s39
	s_mul_hi_u32 s39, s20, s8
	s_addc_u32 s3, s37, s3
	s_add_i32 s25, s39, s25
	s_mul_i32 s39, s21, s8
	s_add_i32 s25, s25, s39
	s_mul_i32 s8, s20, s8
	s_load_dword s39, s[4:5], 0x4
	s_add_u32 s8, s24, s8
	s_addc_u32 s3, s3, s25
	s_mul_i32 s24, s22, s42
	s_mul_hi_u32 s25, s22, s38
	s_add_i32 s24, s25, s24
	s_mul_i32 s25, s23, s38
	s_add_i32 s25, s24, s25
	s_mul_i32 s24, s22, s38
	s_add_u32 s24, s8, s24
	s_waitcnt lgkmcnt(0)
	s_mul_i32 s8, s39, s41
	s_addc_u32 s25, s3, s25
	s_lshl_b64 s[38:39], s[8:9], 25
	v_mov_b32_e32 v7, v5
	v_mov_b32_e32 v9, v3
	;; [unrolled: 1-line block ×3, first 2 shown]
	s_mov_b64 s[42:43], 0
	v_mov_b32_e32 v12, s2
	v_mov_b32_e32 v13, s39
	;; [unrolled: 1-line block ×6, first 2 shown]
.LBB14_5:                               ;   Parent Loop BB14_3 Depth=1
                                        ; =>  This Inner Loop Header: Depth=2
	v_mad_i64_i32 v[15:16], s[2:3], v9, 18, s[24:25]
	v_and_b32_e32 v17, 0x7f, v10
	v_bfe_u32 v18, v10, 3, 4
	v_add_u32_e32 v21, 1, v17
	v_add_co_u32_e32 v17, vcc, v15, v18
	v_lshrrev_b32_e32 v19, 3, v21
	v_addc_co_u32_e32 v18, vcc, 0, v16, vcc
	v_add_co_u32_e32 v19, vcc, v15, v19
	v_addc_co_u32_e32 v20, vcc, 0, v16, vcc
	global_load_ushort v22, v[15:16], off
	global_load_ubyte v23, v[17:18], off offset:2
	global_load_ubyte v24, v[19:20], off offset:2
	v_and_b32_e32 v17, 7, v10
	v_and_b32_e32 v18, 7, v21
	v_add_co_u32_e32 v10, vcc, s8, v10
	v_addc_co_u32_e32 v11, vcc, 0, v11, vcc
	v_add_co_u32_e32 v8, vcc, s38, v8
	v_addc_co_u32_e32 v9, vcc, v9, v13, vcc
	v_ashrrev_i64 v[15:16], 30, v[6:7]
	v_add_co_u32_e32 v6, vcc, 0, v6
	v_addc_co_u32_e32 v7, vcc, v7, v14, vcc
	v_cmp_le_i64_e32 vcc, s[28:29], v[10:11]
	v_add_co_u32_e64 v15, s[2:3], s48, v15
	v_addc_co_u32_e64 v16, s[2:3], v12, v16, s[2:3]
	s_or_b64 s[42:43], vcc, s[42:43]
	s_waitcnt vmcnt(2)
	v_cvt_f32_f16_e32 v19, v22
	s_waitcnt vmcnt(1)
	v_lshrrev_b32_e32 v17, v17, v23
	s_waitcnt vmcnt(0)
	v_lshrrev_b32_e32 v18, v18, v24
	v_lshlrev_b32_e32 v17, 1, v17
	v_lshlrev_b32_e32 v18, 1, v18
	v_and_b32_e32 v17, 2, v17
	v_and_b32_e32 v18, 2, v18
	v_add_u32_e32 v17, -1, v17
	v_add_u32_e32 v18, -1, v18
	v_cvt_f32_i32_e32 v17, v17
	v_cvt_f32_i32_e32 v18, v18
	v_mul_f32_e32 v17, v19, v17
	v_mul_f32_e32 v18, v19, v18
	v_cvt_i32_f32_e32 v17, v17
	v_cvt_i32_f32_e32 v18, v18
	global_store_dwordx2 v[15:16], v[17:18], off
	s_andn2_b64 exec, exec, s[42:43]
	s_cbranch_execnz .LBB14_5
	s_branch .LBB14_2
.LBB14_6:
	s_endpgm
	.section	.rodata,"a",@progbits
	.p2align	6, 0x0
	.amdhsa_kernel _ZL10k_get_rowsILi128ELi1EXadL_ZL15dequantize_q1_0PKvliR15HIP_vector_typeIfLj2EEEEiEvS1_PKiPT2_llS2_IjLj3EEmmmmmmmmm
		.amdhsa_group_segment_fixed_size 0
		.amdhsa_private_segment_fixed_size 0
		.amdhsa_kernarg_size 384
		.amdhsa_user_sgpr_count 6
		.amdhsa_user_sgpr_private_segment_buffer 1
		.amdhsa_user_sgpr_dispatch_ptr 0
		.amdhsa_user_sgpr_queue_ptr 0
		.amdhsa_user_sgpr_kernarg_segment_ptr 1
		.amdhsa_user_sgpr_dispatch_id 0
		.amdhsa_user_sgpr_flat_scratch_init 0
		.amdhsa_user_sgpr_private_segment_size 0
		.amdhsa_uses_dynamic_stack 0
		.amdhsa_system_sgpr_private_segment_wavefront_offset 0
		.amdhsa_system_sgpr_workgroup_id_x 1
		.amdhsa_system_sgpr_workgroup_id_y 1
		.amdhsa_system_sgpr_workgroup_id_z 1
		.amdhsa_system_sgpr_workgroup_info 0
		.amdhsa_system_vgpr_workitem_id 0
		.amdhsa_next_free_vgpr 25
		.amdhsa_next_free_sgpr 50
		.amdhsa_reserve_vcc 1
		.amdhsa_reserve_flat_scratch 0
		.amdhsa_float_round_mode_32 0
		.amdhsa_float_round_mode_16_64 0
		.amdhsa_float_denorm_mode_32 3
		.amdhsa_float_denorm_mode_16_64 3
		.amdhsa_dx10_clamp 1
		.amdhsa_ieee_mode 1
		.amdhsa_fp16_overflow 0
		.amdhsa_exception_fp_ieee_invalid_op 0
		.amdhsa_exception_fp_denorm_src 0
		.amdhsa_exception_fp_ieee_div_zero 0
		.amdhsa_exception_fp_ieee_overflow 0
		.amdhsa_exception_fp_ieee_underflow 0
		.amdhsa_exception_fp_ieee_inexact 0
		.amdhsa_exception_int_div_zero 0
	.end_amdhsa_kernel
	.section	.text._ZL10k_get_rowsILi128ELi1EXadL_ZL15dequantize_q1_0PKvliR15HIP_vector_typeIfLj2EEEEiEvS1_PKiPT2_llS2_IjLj3EEmmmmmmmmm,"axG",@progbits,_ZL10k_get_rowsILi128ELi1EXadL_ZL15dequantize_q1_0PKvliR15HIP_vector_typeIfLj2EEEEiEvS1_PKiPT2_llS2_IjLj3EEmmmmmmmmm,comdat
.Lfunc_end14:
	.size	_ZL10k_get_rowsILi128ELi1EXadL_ZL15dequantize_q1_0PKvliR15HIP_vector_typeIfLj2EEEEiEvS1_PKiPT2_llS2_IjLj3EEmmmmmmmmm, .Lfunc_end14-_ZL10k_get_rowsILi128ELi1EXadL_ZL15dequantize_q1_0PKvliR15HIP_vector_typeIfLj2EEEEiEvS1_PKiPT2_llS2_IjLj3EEmmmmmmmmm
                                        ; -- End function
	.set _ZL10k_get_rowsILi128ELi1EXadL_ZL15dequantize_q1_0PKvliR15HIP_vector_typeIfLj2EEEEiEvS1_PKiPT2_llS2_IjLj3EEmmmmmmmmm.num_vgpr, 25
	.set _ZL10k_get_rowsILi128ELi1EXadL_ZL15dequantize_q1_0PKvliR15HIP_vector_typeIfLj2EEEEiEvS1_PKiPT2_llS2_IjLj3EEmmmmmmmmm.num_agpr, 0
	.set _ZL10k_get_rowsILi128ELi1EXadL_ZL15dequantize_q1_0PKvliR15HIP_vector_typeIfLj2EEEEiEvS1_PKiPT2_llS2_IjLj3EEmmmmmmmmm.numbered_sgpr, 50
	.set _ZL10k_get_rowsILi128ELi1EXadL_ZL15dequantize_q1_0PKvliR15HIP_vector_typeIfLj2EEEEiEvS1_PKiPT2_llS2_IjLj3EEmmmmmmmmm.num_named_barrier, 0
	.set _ZL10k_get_rowsILi128ELi1EXadL_ZL15dequantize_q1_0PKvliR15HIP_vector_typeIfLj2EEEEiEvS1_PKiPT2_llS2_IjLj3EEmmmmmmmmm.private_seg_size, 0
	.set _ZL10k_get_rowsILi128ELi1EXadL_ZL15dequantize_q1_0PKvliR15HIP_vector_typeIfLj2EEEEiEvS1_PKiPT2_llS2_IjLj3EEmmmmmmmmm.uses_vcc, 1
	.set _ZL10k_get_rowsILi128ELi1EXadL_ZL15dequantize_q1_0PKvliR15HIP_vector_typeIfLj2EEEEiEvS1_PKiPT2_llS2_IjLj3EEmmmmmmmmm.uses_flat_scratch, 0
	.set _ZL10k_get_rowsILi128ELi1EXadL_ZL15dequantize_q1_0PKvliR15HIP_vector_typeIfLj2EEEEiEvS1_PKiPT2_llS2_IjLj3EEmmmmmmmmm.has_dyn_sized_stack, 0
	.set _ZL10k_get_rowsILi128ELi1EXadL_ZL15dequantize_q1_0PKvliR15HIP_vector_typeIfLj2EEEEiEvS1_PKiPT2_llS2_IjLj3EEmmmmmmmmm.has_recursion, 0
	.set _ZL10k_get_rowsILi128ELi1EXadL_ZL15dequantize_q1_0PKvliR15HIP_vector_typeIfLj2EEEEiEvS1_PKiPT2_llS2_IjLj3EEmmmmmmmmm.has_indirect_call, 0
	.section	.AMDGPU.csdata,"",@progbits
; Kernel info:
; codeLenInByte = 864
; TotalNumSgprs: 54
; NumVgprs: 25
; ScratchSize: 0
; MemoryBound: 0
; FloatMode: 240
; IeeeMode: 1
; LDSByteSize: 0 bytes/workgroup (compile time only)
; SGPRBlocks: 6
; VGPRBlocks: 6
; NumSGPRsForWavesPerEU: 54
; NumVGPRsForWavesPerEU: 25
; Occupancy: 9
; WaveLimiterHint : 1
; COMPUTE_PGM_RSRC2:SCRATCH_EN: 0
; COMPUTE_PGM_RSRC2:USER_SGPR: 6
; COMPUTE_PGM_RSRC2:TRAP_HANDLER: 0
; COMPUTE_PGM_RSRC2:TGID_X_EN: 1
; COMPUTE_PGM_RSRC2:TGID_Y_EN: 1
; COMPUTE_PGM_RSRC2:TGID_Z_EN: 1
; COMPUTE_PGM_RSRC2:TIDIG_COMP_CNT: 0
	.section	.text._ZL10k_get_rowsILi32ELi2EXadL_ZL15dequantize_q4_0PKvliR15HIP_vector_typeIfLj2EEEEiEvS1_PKiPT2_llS2_IjLj3EEmmmmmmmmm,"axG",@progbits,_ZL10k_get_rowsILi32ELi2EXadL_ZL15dequantize_q4_0PKvliR15HIP_vector_typeIfLj2EEEEiEvS1_PKiPT2_llS2_IjLj3EEmmmmmmmmm,comdat
	.globl	_ZL10k_get_rowsILi32ELi2EXadL_ZL15dequantize_q4_0PKvliR15HIP_vector_typeIfLj2EEEEiEvS1_PKiPT2_llS2_IjLj3EEmmmmmmmmm ; -- Begin function _ZL10k_get_rowsILi32ELi2EXadL_ZL15dequantize_q4_0PKvliR15HIP_vector_typeIfLj2EEEEiEvS1_PKiPT2_llS2_IjLj3EEmmmmmmmmm
	.p2align	8
	.type	_ZL10k_get_rowsILi32ELi2EXadL_ZL15dequantize_q4_0PKvliR15HIP_vector_typeIfLj2EEEEiEvS1_PKiPT2_llS2_IjLj3EEmmmmmmmmm,@function
_ZL10k_get_rowsILi32ELi2EXadL_ZL15dequantize_q4_0PKvliR15HIP_vector_typeIfLj2EEEEiEvS1_PKiPT2_llS2_IjLj3EEmmmmmmmmm: ; @_ZL10k_get_rowsILi32ELi2EXadL_ZL15dequantize_q4_0PKvliR15HIP_vector_typeIfLj2EEEEiEvS1_PKiPT2_llS2_IjLj3EEmmmmmmmmm
; %bb.0:
	s_load_dwordx4 s[28:31], s[4:5], 0x18
	s_load_dwordx2 s[2:3], s[4:5], 0x2c
	s_mov_b32 s9, 0
	v_mov_b32_e32 v1, s8
	v_mov_b32_e32 v2, s9
	s_waitcnt lgkmcnt(0)
	s_mul_i32 s0, s31, s3
	s_mul_hi_u32 s1, s30, s3
	s_add_i32 s35, s1, s0
	s_mul_i32 s34, s30, s3
	v_cmp_le_i64_e32 vcc, s[34:35], v[1:2]
	s_cbranch_vccnz .LBB15_6
; %bb.1:
	s_load_dwordx4 s[36:39], s[4:5], 0x0
	s_load_dwordx2 s[42:43], s[4:5], 0x10
	s_load_dwordx2 s[10:11], s[4:5], 0x78
	;; [unrolled: 1-line block ×3, first 2 shown]
	s_load_dword s33, s[4:5], 0x28
	s_load_dwordx16 s[12:27], s[4:5], 0x38
	s_add_u32 s4, s4, 0x80
	s_addc_u32 s5, s5, 0
	s_waitcnt lgkmcnt(0)
	s_and_b32 s31, s31, 0xffff
	s_mul_i32 s7, s7, s31
	v_add_lshl_u32 v0, s7, v0, 1
	s_ashr_i32 s7, s6, 31
	s_mul_hi_u32 s40, s24, s6
	s_mul_i32 s41, s24, s7
	s_add_i32 s40, s40, s41
	s_mul_i32 s25, s25, s6
	s_add_i32 s25, s40, s25
	s_mul_i32 s24, s24, s6
	s_lshl_b64 s[24:25], s[24:25], 2
	s_add_u32 s40, s38, s24
	s_mul_hi_u32 s24, s12, s6
	s_mul_i32 s7, s12, s7
	s_addc_u32 s41, s39, s25
	s_add_i32 s7, s24, s7
	s_mul_i32 s13, s13, s6
	s_add_i32 s7, s7, s13
	s_mul_i32 s6, s12, s6
	v_mov_b32_e32 v1, 0
	s_lshl_b64 s[6:7], s[6:7], 2
	v_cmp_gt_i64_e64 s[0:1], s[28:29], v[0:1]
	s_add_u32 s42, s42, s6
	v_lshlrev_b64 v[2:3], 27, v[0:1]
	v_mov_b32_e32 v4, s34
	s_addc_u32 s43, s43, s7
	s_movk_i32 s44, 0xffe0
	v_mov_b32_e32 v5, s35
	s_mov_b64 s[6:7], s[8:9]
	s_branch .LBB15_3
.LBB15_2:                               ;   in Loop: Header=BB15_3 Depth=1
	s_or_b64 exec, exec, s[12:13]
	s_add_u32 s6, s6, s30
	s_addc_u32 s7, s7, 0
	v_cmp_ge_i64_e32 vcc, s[6:7], v[4:5]
	s_cbranch_vccnz .LBB15_6
.LBB15_3:                               ; =>This Loop Header: Depth=1
                                        ;     Child Loop BB15_5 Depth 2
	s_and_saveexec_b64 s[12:13], s[0:1]
	s_cbranch_execz .LBB15_2
; %bb.4:                                ;   in Loop: Header=BB15_3 Depth=1
	s_mul_hi_u32 s8, s6, s33
	s_add_i32 s8, s8, s6
	s_lshr_b32 s8, s8, s2
	s_mul_i32 s24, s8, s3
	s_sub_i32 s38, s6, s24
	s_ashr_i32 s39, s8, 31
	s_mul_i32 s24, s26, s39
	s_mul_hi_u32 s25, s26, s8
	s_ashr_i32 s46, s38, 31
	s_add_i32 s24, s25, s24
	s_mul_i32 s25, s27, s8
	s_mul_i32 s34, s10, s46
	s_mul_hi_u32 s35, s10, s38
	s_add_i32 s25, s24, s25
	s_mul_i32 s24, s26, s8
	s_add_i32 s34, s35, s34
	s_mul_i32 s35, s11, s38
	s_add_i32 s35, s34, s35
	s_lshl_b64 s[24:25], s[24:25], 2
	s_mul_i32 s34, s10, s38
	s_add_u32 s45, s40, s24
	s_addc_u32 s47, s41, s25
	s_lshl_b64 s[24:25], s[34:35], 2
	s_add_u32 s24, s45, s24
	s_addc_u32 s25, s47, s25
	s_load_dword s34, s[24:25], 0x0
	s_mul_i32 s24, s14, s39
	s_mul_hi_u32 s25, s14, s8
	s_add_i32 s24, s25, s24
	s_mul_i32 s25, s15, s8
	s_add_i32 s25, s24, s25
	s_mul_i32 s24, s14, s8
	s_waitcnt lgkmcnt(0)
	s_ashr_i32 s35, s34, 31
	s_lshl_b64 s[24:25], s[24:25], 2
	s_add_u32 s45, s42, s24
	s_addc_u32 s47, s43, s25
	s_mul_i32 s24, s16, s46
	s_mul_hi_u32 s25, s16, s38
	s_add_i32 s24, s25, s24
	s_mul_i32 s25, s17, s38
	s_add_i32 s25, s24, s25
	s_mul_i32 s24, s16, s38
	s_lshl_b64 s[24:25], s[24:25], 2
	s_add_u32 s45, s45, s24
	s_addc_u32 s47, s47, s25
	s_mul_i32 s24, s18, s35
	s_mul_hi_u32 s25, s18, s34
	s_add_i32 s24, s25, s24
	s_mul_i32 s25, s19, s34
	s_add_i32 s24, s24, s25
	s_mul_i32 s25, s18, s34
	s_add_u32 s25, s36, s25
	s_mul_i32 s34, s20, s39
	s_mul_hi_u32 s35, s20, s8
	s_addc_u32 s24, s37, s24
	s_add_i32 s34, s35, s34
	s_mul_i32 s35, s21, s8
	s_add_i32 s34, s34, s35
	s_mul_i32 s8, s20, s8
	s_load_dword s35, s[4:5], 0x4
	s_add_u32 s8, s25, s8
	s_addc_u32 s25, s24, s34
	s_mul_i32 s24, s22, s46
	s_mul_hi_u32 s34, s22, s38
	s_add_i32 s24, s34, s24
	s_mul_i32 s34, s23, s38
	s_add_i32 s34, s24, s34
	s_mul_i32 s24, s22, s38
	s_add_u32 s24, s8, s24
	s_waitcnt lgkmcnt(0)
	s_mul_i32 s8, s35, s31
	s_addc_u32 s25, s25, s34
	s_lshl_b64 s[34:35], s[8:9], 27
	v_mov_b32_e32 v7, v3
	v_mov_b32_e32 v9, v1
	s_mov_b64 s[38:39], 0
	v_mov_b32_e32 v10, s47
	v_mov_b32_e32 v11, s35
	v_mov_b32_e32 v6, v2
	v_mov_b32_e32 v8, v0
.LBB15_5:                               ;   Parent Loop BB15_3 Depth=1
                                        ; =>  This Inner Loop Header: Depth=2
	v_mad_i64_i32 v[12:13], s[46:47], v7, 18, s[24:25]
	v_bfe_u32 v16, v8, 1, 4
	v_add_co_u32_e32 v14, vcc, v12, v16
	v_addc_co_u32_e32 v15, vcc, 0, v13, vcc
	global_load_ushort v17, v[12:13], off
	global_load_ubyte v18, v[14:15], off offset:2
	v_and_or_b32 v12, v8, s44, v16
	v_add_co_u32_e32 v6, vcc, s34, v6
	v_addc_co_u32_e32 v7, vcc, v7, v11, vcc
	v_add_co_u32_e32 v8, vcc, s8, v8
	v_addc_co_u32_e32 v9, vcc, 0, v9, vcc
	v_ashrrev_i32_e32 v13, 31, v12
	v_cmp_le_i64_e32 vcc, s[28:29], v[8:9]
	v_lshlrev_b64 v[12:13], 2, v[12:13]
	s_or_b64 s[38:39], vcc, s[38:39]
	v_add_co_u32_e32 v12, vcc, s45, v12
	v_addc_co_u32_e32 v13, vcc, v10, v13, vcc
	s_waitcnt vmcnt(1)
	v_cvt_f32_f16_e32 v14, v17
	s_waitcnt vmcnt(0)
	v_and_b32_e32 v15, 15, v18
	v_lshrrev_b32_e32 v16, 4, v18
	v_add_u32_e32 v15, -8, v15
	v_add_u32_e32 v16, -8, v16
	v_cvt_f32_i32_e32 v15, v15
	v_cvt_f32_i32_e32 v16, v16
	v_mul_f32_e32 v15, v14, v15
	v_mul_f32_e32 v14, v14, v16
	v_cvt_i32_f32_e32 v15, v15
	v_cvt_i32_f32_e32 v14, v14
	global_store_dword v[12:13], v15, off
	global_store_dword v[12:13], v14, off offset:64
	s_andn2_b64 exec, exec, s[38:39]
	s_cbranch_execnz .LBB15_5
	s_branch .LBB15_2
.LBB15_6:
	s_endpgm
	.section	.rodata,"a",@progbits
	.p2align	6, 0x0
	.amdhsa_kernel _ZL10k_get_rowsILi32ELi2EXadL_ZL15dequantize_q4_0PKvliR15HIP_vector_typeIfLj2EEEEiEvS1_PKiPT2_llS2_IjLj3EEmmmmmmmmm
		.amdhsa_group_segment_fixed_size 0
		.amdhsa_private_segment_fixed_size 0
		.amdhsa_kernarg_size 384
		.amdhsa_user_sgpr_count 6
		.amdhsa_user_sgpr_private_segment_buffer 1
		.amdhsa_user_sgpr_dispatch_ptr 0
		.amdhsa_user_sgpr_queue_ptr 0
		.amdhsa_user_sgpr_kernarg_segment_ptr 1
		.amdhsa_user_sgpr_dispatch_id 0
		.amdhsa_user_sgpr_flat_scratch_init 0
		.amdhsa_user_sgpr_private_segment_size 0
		.amdhsa_uses_dynamic_stack 0
		.amdhsa_system_sgpr_private_segment_wavefront_offset 0
		.amdhsa_system_sgpr_workgroup_id_x 1
		.amdhsa_system_sgpr_workgroup_id_y 1
		.amdhsa_system_sgpr_workgroup_id_z 1
		.amdhsa_system_sgpr_workgroup_info 0
		.amdhsa_system_vgpr_workitem_id 0
		.amdhsa_next_free_vgpr 19
		.amdhsa_next_free_sgpr 48
		.amdhsa_reserve_vcc 1
		.amdhsa_reserve_flat_scratch 0
		.amdhsa_float_round_mode_32 0
		.amdhsa_float_round_mode_16_64 0
		.amdhsa_float_denorm_mode_32 3
		.amdhsa_float_denorm_mode_16_64 3
		.amdhsa_dx10_clamp 1
		.amdhsa_ieee_mode 1
		.amdhsa_fp16_overflow 0
		.amdhsa_exception_fp_ieee_invalid_op 0
		.amdhsa_exception_fp_denorm_src 0
		.amdhsa_exception_fp_ieee_div_zero 0
		.amdhsa_exception_fp_ieee_overflow 0
		.amdhsa_exception_fp_ieee_underflow 0
		.amdhsa_exception_fp_ieee_inexact 0
		.amdhsa_exception_int_div_zero 0
	.end_amdhsa_kernel
	.section	.text._ZL10k_get_rowsILi32ELi2EXadL_ZL15dequantize_q4_0PKvliR15HIP_vector_typeIfLj2EEEEiEvS1_PKiPT2_llS2_IjLj3EEmmmmmmmmm,"axG",@progbits,_ZL10k_get_rowsILi32ELi2EXadL_ZL15dequantize_q4_0PKvliR15HIP_vector_typeIfLj2EEEEiEvS1_PKiPT2_llS2_IjLj3EEmmmmmmmmm,comdat
.Lfunc_end15:
	.size	_ZL10k_get_rowsILi32ELi2EXadL_ZL15dequantize_q4_0PKvliR15HIP_vector_typeIfLj2EEEEiEvS1_PKiPT2_llS2_IjLj3EEmmmmmmmmm, .Lfunc_end15-_ZL10k_get_rowsILi32ELi2EXadL_ZL15dequantize_q4_0PKvliR15HIP_vector_typeIfLj2EEEEiEvS1_PKiPT2_llS2_IjLj3EEmmmmmmmmm
                                        ; -- End function
	.set _ZL10k_get_rowsILi32ELi2EXadL_ZL15dequantize_q4_0PKvliR15HIP_vector_typeIfLj2EEEEiEvS1_PKiPT2_llS2_IjLj3EEmmmmmmmmm.num_vgpr, 19
	.set _ZL10k_get_rowsILi32ELi2EXadL_ZL15dequantize_q4_0PKvliR15HIP_vector_typeIfLj2EEEEiEvS1_PKiPT2_llS2_IjLj3EEmmmmmmmmm.num_agpr, 0
	.set _ZL10k_get_rowsILi32ELi2EXadL_ZL15dequantize_q4_0PKvliR15HIP_vector_typeIfLj2EEEEiEvS1_PKiPT2_llS2_IjLj3EEmmmmmmmmm.numbered_sgpr, 48
	.set _ZL10k_get_rowsILi32ELi2EXadL_ZL15dequantize_q4_0PKvliR15HIP_vector_typeIfLj2EEEEiEvS1_PKiPT2_llS2_IjLj3EEmmmmmmmmm.num_named_barrier, 0
	.set _ZL10k_get_rowsILi32ELi2EXadL_ZL15dequantize_q4_0PKvliR15HIP_vector_typeIfLj2EEEEiEvS1_PKiPT2_llS2_IjLj3EEmmmmmmmmm.private_seg_size, 0
	.set _ZL10k_get_rowsILi32ELi2EXadL_ZL15dequantize_q4_0PKvliR15HIP_vector_typeIfLj2EEEEiEvS1_PKiPT2_llS2_IjLj3EEmmmmmmmmm.uses_vcc, 1
	.set _ZL10k_get_rowsILi32ELi2EXadL_ZL15dequantize_q4_0PKvliR15HIP_vector_typeIfLj2EEEEiEvS1_PKiPT2_llS2_IjLj3EEmmmmmmmmm.uses_flat_scratch, 0
	.set _ZL10k_get_rowsILi32ELi2EXadL_ZL15dequantize_q4_0PKvliR15HIP_vector_typeIfLj2EEEEiEvS1_PKiPT2_llS2_IjLj3EEmmmmmmmmm.has_dyn_sized_stack, 0
	.set _ZL10k_get_rowsILi32ELi2EXadL_ZL15dequantize_q4_0PKvliR15HIP_vector_typeIfLj2EEEEiEvS1_PKiPT2_llS2_IjLj3EEmmmmmmmmm.has_recursion, 0
	.set _ZL10k_get_rowsILi32ELi2EXadL_ZL15dequantize_q4_0PKvliR15HIP_vector_typeIfLj2EEEEiEvS1_PKiPT2_llS2_IjLj3EEmmmmmmmmm.has_indirect_call, 0
	.section	.AMDGPU.csdata,"",@progbits
; Kernel info:
; codeLenInByte = 792
; TotalNumSgprs: 52
; NumVgprs: 19
; ScratchSize: 0
; MemoryBound: 0
; FloatMode: 240
; IeeeMode: 1
; LDSByteSize: 0 bytes/workgroup (compile time only)
; SGPRBlocks: 6
; VGPRBlocks: 4
; NumSGPRsForWavesPerEU: 52
; NumVGPRsForWavesPerEU: 19
; Occupancy: 10
; WaveLimiterHint : 1
; COMPUTE_PGM_RSRC2:SCRATCH_EN: 0
; COMPUTE_PGM_RSRC2:USER_SGPR: 6
; COMPUTE_PGM_RSRC2:TRAP_HANDLER: 0
; COMPUTE_PGM_RSRC2:TGID_X_EN: 1
; COMPUTE_PGM_RSRC2:TGID_Y_EN: 1
; COMPUTE_PGM_RSRC2:TGID_Z_EN: 1
; COMPUTE_PGM_RSRC2:TIDIG_COMP_CNT: 0
	.section	.text._ZL10k_get_rowsILi32ELi2EXadL_ZL15dequantize_q4_1PKvliR15HIP_vector_typeIfLj2EEEEiEvS1_PKiPT2_llS2_IjLj3EEmmmmmmmmm,"axG",@progbits,_ZL10k_get_rowsILi32ELi2EXadL_ZL15dequantize_q4_1PKvliR15HIP_vector_typeIfLj2EEEEiEvS1_PKiPT2_llS2_IjLj3EEmmmmmmmmm,comdat
	.globl	_ZL10k_get_rowsILi32ELi2EXadL_ZL15dequantize_q4_1PKvliR15HIP_vector_typeIfLj2EEEEiEvS1_PKiPT2_llS2_IjLj3EEmmmmmmmmm ; -- Begin function _ZL10k_get_rowsILi32ELi2EXadL_ZL15dequantize_q4_1PKvliR15HIP_vector_typeIfLj2EEEEiEvS1_PKiPT2_llS2_IjLj3EEmmmmmmmmm
	.p2align	8
	.type	_ZL10k_get_rowsILi32ELi2EXadL_ZL15dequantize_q4_1PKvliR15HIP_vector_typeIfLj2EEEEiEvS1_PKiPT2_llS2_IjLj3EEmmmmmmmmm,@function
_ZL10k_get_rowsILi32ELi2EXadL_ZL15dequantize_q4_1PKvliR15HIP_vector_typeIfLj2EEEEiEvS1_PKiPT2_llS2_IjLj3EEmmmmmmmmm: ; @_ZL10k_get_rowsILi32ELi2EXadL_ZL15dequantize_q4_1PKvliR15HIP_vector_typeIfLj2EEEEiEvS1_PKiPT2_llS2_IjLj3EEmmmmmmmmm
; %bb.0:
	s_load_dwordx4 s[28:31], s[4:5], 0x18
	s_load_dwordx2 s[2:3], s[4:5], 0x2c
	s_mov_b32 s9, 0
	v_mov_b32_e32 v1, s8
	v_mov_b32_e32 v2, s9
	s_waitcnt lgkmcnt(0)
	s_mul_i32 s0, s31, s3
	s_mul_hi_u32 s1, s30, s3
	s_add_i32 s35, s1, s0
	s_mul_i32 s34, s30, s3
	v_cmp_le_i64_e32 vcc, s[34:35], v[1:2]
	s_cbranch_vccnz .LBB16_6
; %bb.1:
	s_load_dwordx4 s[36:39], s[4:5], 0x0
	s_load_dwordx2 s[42:43], s[4:5], 0x10
	s_load_dwordx2 s[10:11], s[4:5], 0x78
	;; [unrolled: 1-line block ×3, first 2 shown]
	s_load_dword s33, s[4:5], 0x28
	s_load_dwordx16 s[12:27], s[4:5], 0x38
	s_add_u32 s4, s4, 0x80
	s_addc_u32 s5, s5, 0
	s_waitcnt lgkmcnt(0)
	s_and_b32 s31, s31, 0xffff
	s_mul_i32 s7, s7, s31
	v_add_lshl_u32 v0, s7, v0, 1
	s_ashr_i32 s7, s6, 31
	s_mul_hi_u32 s40, s24, s6
	s_mul_i32 s41, s24, s7
	s_add_i32 s40, s40, s41
	s_mul_i32 s25, s25, s6
	s_add_i32 s25, s40, s25
	s_mul_i32 s24, s24, s6
	s_lshl_b64 s[24:25], s[24:25], 2
	s_add_u32 s40, s38, s24
	s_mul_hi_u32 s24, s12, s6
	s_mul_i32 s7, s12, s7
	s_addc_u32 s41, s39, s25
	s_add_i32 s7, s24, s7
	s_mul_i32 s13, s13, s6
	s_add_i32 s7, s7, s13
	s_mul_i32 s6, s12, s6
	v_mov_b32_e32 v1, 0
	s_lshl_b64 s[6:7], s[6:7], 2
	v_cmp_gt_i64_e64 s[0:1], s[28:29], v[0:1]
	s_add_u32 s42, s42, s6
	v_lshlrev_b64 v[2:3], 27, v[0:1]
	v_mov_b32_e32 v4, s34
	s_addc_u32 s43, s43, s7
	s_movk_i32 s44, 0xffe0
	v_mov_b32_e32 v5, s35
	s_mov_b64 s[6:7], s[8:9]
	s_branch .LBB16_3
.LBB16_2:                               ;   in Loop: Header=BB16_3 Depth=1
	s_or_b64 exec, exec, s[12:13]
	s_add_u32 s6, s6, s30
	s_addc_u32 s7, s7, 0
	v_cmp_ge_i64_e32 vcc, s[6:7], v[4:5]
	s_cbranch_vccnz .LBB16_6
.LBB16_3:                               ; =>This Loop Header: Depth=1
                                        ;     Child Loop BB16_5 Depth 2
	s_and_saveexec_b64 s[12:13], s[0:1]
	s_cbranch_execz .LBB16_2
; %bb.4:                                ;   in Loop: Header=BB16_3 Depth=1
	s_mul_hi_u32 s8, s6, s33
	s_add_i32 s8, s8, s6
	s_lshr_b32 s8, s8, s2
	s_mul_i32 s24, s8, s3
	s_sub_i32 s38, s6, s24
	s_ashr_i32 s39, s8, 31
	s_mul_i32 s24, s26, s39
	s_mul_hi_u32 s25, s26, s8
	s_ashr_i32 s46, s38, 31
	s_add_i32 s24, s25, s24
	s_mul_i32 s25, s27, s8
	s_mul_i32 s34, s10, s46
	s_mul_hi_u32 s35, s10, s38
	s_add_i32 s25, s24, s25
	s_mul_i32 s24, s26, s8
	s_add_i32 s34, s35, s34
	s_mul_i32 s35, s11, s38
	s_add_i32 s35, s34, s35
	s_lshl_b64 s[24:25], s[24:25], 2
	s_mul_i32 s34, s10, s38
	s_add_u32 s45, s40, s24
	s_addc_u32 s47, s41, s25
	s_lshl_b64 s[24:25], s[34:35], 2
	s_add_u32 s24, s45, s24
	s_addc_u32 s25, s47, s25
	s_load_dword s34, s[24:25], 0x0
	s_mul_i32 s24, s14, s39
	s_mul_hi_u32 s25, s14, s8
	s_add_i32 s24, s25, s24
	s_mul_i32 s25, s15, s8
	s_add_i32 s25, s24, s25
	s_mul_i32 s24, s14, s8
	s_waitcnt lgkmcnt(0)
	s_ashr_i32 s35, s34, 31
	s_lshl_b64 s[24:25], s[24:25], 2
	s_add_u32 s45, s42, s24
	s_addc_u32 s47, s43, s25
	s_mul_i32 s24, s16, s46
	s_mul_hi_u32 s25, s16, s38
	s_add_i32 s24, s25, s24
	s_mul_i32 s25, s17, s38
	s_add_i32 s25, s24, s25
	s_mul_i32 s24, s16, s38
	s_lshl_b64 s[24:25], s[24:25], 2
	s_add_u32 s45, s45, s24
	s_addc_u32 s47, s47, s25
	s_mul_i32 s24, s18, s35
	s_mul_hi_u32 s25, s18, s34
	s_add_i32 s24, s25, s24
	s_mul_i32 s25, s19, s34
	s_add_i32 s24, s24, s25
	s_mul_i32 s25, s18, s34
	s_add_u32 s25, s36, s25
	s_mul_i32 s34, s20, s39
	s_mul_hi_u32 s35, s20, s8
	s_addc_u32 s24, s37, s24
	s_add_i32 s34, s35, s34
	s_mul_i32 s35, s21, s8
	s_add_i32 s34, s34, s35
	s_mul_i32 s8, s20, s8
	s_load_dword s35, s[4:5], 0x4
	s_add_u32 s8, s25, s8
	s_addc_u32 s25, s24, s34
	s_mul_i32 s24, s22, s46
	s_mul_hi_u32 s34, s22, s38
	s_add_i32 s24, s34, s24
	s_mul_i32 s34, s23, s38
	s_add_i32 s34, s24, s34
	s_mul_i32 s24, s22, s38
	s_add_u32 s24, s8, s24
	s_waitcnt lgkmcnt(0)
	s_mul_i32 s8, s35, s31
	s_addc_u32 s25, s25, s34
	s_lshl_b64 s[34:35], s[8:9], 27
	v_mov_b32_e32 v7, v3
	v_mov_b32_e32 v9, v1
	s_mov_b64 s[38:39], 0
	v_mov_b32_e32 v10, s47
	v_mov_b32_e32 v11, s35
	v_mov_b32_e32 v6, v2
	v_mov_b32_e32 v8, v0
.LBB16_5:                               ;   Parent Loop BB16_3 Depth=1
                                        ; =>  This Inner Loop Header: Depth=2
	v_mad_i64_i32 v[12:13], s[46:47], v7, 20, s[24:25]
	v_bfe_u32 v16, v8, 1, 4
	v_add_co_u32_e32 v14, vcc, v12, v16
	v_addc_co_u32_e32 v15, vcc, 0, v13, vcc
	global_load_dword v17, v[12:13], off
	global_load_ubyte v18, v[14:15], off offset:4
	v_add_co_u32_e32 v6, vcc, s34, v6
	v_addc_co_u32_e32 v7, vcc, v7, v11, vcc
	v_and_or_b32 v12, v8, s44, v16
	v_add_co_u32_e32 v8, vcc, s8, v8
	v_addc_co_u32_e32 v9, vcc, 0, v9, vcc
	v_ashrrev_i32_e32 v13, 31, v12
	v_cmp_le_i64_e32 vcc, s[28:29], v[8:9]
	v_lshlrev_b64 v[12:13], 2, v[12:13]
	s_or_b64 s[38:39], vcc, s[38:39]
	v_add_co_u32_e32 v12, vcc, s45, v12
	v_addc_co_u32_e32 v13, vcc, v10, v13, vcc
	s_waitcnt vmcnt(0)
	v_and_b32_e32 v14, 15, v18
	v_lshrrev_b32_e32 v15, 4, v18
	v_cvt_f32_ubyte0_e32 v14, v14
	v_cvt_f32_ubyte0_e32 v15, v15
	v_fma_mix_f32 v14, v17, v14, v17 op_sel:[0,0,1] op_sel_hi:[1,0,1]
	v_fma_mix_f32 v15, v17, v15, v17 op_sel:[0,0,1] op_sel_hi:[1,0,1]
	v_cvt_i32_f32_e32 v14, v14
	v_cvt_i32_f32_e32 v15, v15
	global_store_dword v[12:13], v14, off
	global_store_dword v[12:13], v15, off offset:64
	s_andn2_b64 exec, exec, s[38:39]
	s_cbranch_execnz .LBB16_5
	s_branch .LBB16_2
.LBB16_6:
	s_endpgm
	.section	.rodata,"a",@progbits
	.p2align	6, 0x0
	.amdhsa_kernel _ZL10k_get_rowsILi32ELi2EXadL_ZL15dequantize_q4_1PKvliR15HIP_vector_typeIfLj2EEEEiEvS1_PKiPT2_llS2_IjLj3EEmmmmmmmmm
		.amdhsa_group_segment_fixed_size 0
		.amdhsa_private_segment_fixed_size 0
		.amdhsa_kernarg_size 384
		.amdhsa_user_sgpr_count 6
		.amdhsa_user_sgpr_private_segment_buffer 1
		.amdhsa_user_sgpr_dispatch_ptr 0
		.amdhsa_user_sgpr_queue_ptr 0
		.amdhsa_user_sgpr_kernarg_segment_ptr 1
		.amdhsa_user_sgpr_dispatch_id 0
		.amdhsa_user_sgpr_flat_scratch_init 0
		.amdhsa_user_sgpr_private_segment_size 0
		.amdhsa_uses_dynamic_stack 0
		.amdhsa_system_sgpr_private_segment_wavefront_offset 0
		.amdhsa_system_sgpr_workgroup_id_x 1
		.amdhsa_system_sgpr_workgroup_id_y 1
		.amdhsa_system_sgpr_workgroup_id_z 1
		.amdhsa_system_sgpr_workgroup_info 0
		.amdhsa_system_vgpr_workitem_id 0
		.amdhsa_next_free_vgpr 19
		.amdhsa_next_free_sgpr 48
		.amdhsa_reserve_vcc 1
		.amdhsa_reserve_flat_scratch 0
		.amdhsa_float_round_mode_32 0
		.amdhsa_float_round_mode_16_64 0
		.amdhsa_float_denorm_mode_32 3
		.amdhsa_float_denorm_mode_16_64 3
		.amdhsa_dx10_clamp 1
		.amdhsa_ieee_mode 1
		.amdhsa_fp16_overflow 0
		.amdhsa_exception_fp_ieee_invalid_op 0
		.amdhsa_exception_fp_denorm_src 0
		.amdhsa_exception_fp_ieee_div_zero 0
		.amdhsa_exception_fp_ieee_overflow 0
		.amdhsa_exception_fp_ieee_underflow 0
		.amdhsa_exception_fp_ieee_inexact 0
		.amdhsa_exception_int_div_zero 0
	.end_amdhsa_kernel
	.section	.text._ZL10k_get_rowsILi32ELi2EXadL_ZL15dequantize_q4_1PKvliR15HIP_vector_typeIfLj2EEEEiEvS1_PKiPT2_llS2_IjLj3EEmmmmmmmmm,"axG",@progbits,_ZL10k_get_rowsILi32ELi2EXadL_ZL15dequantize_q4_1PKvliR15HIP_vector_typeIfLj2EEEEiEvS1_PKiPT2_llS2_IjLj3EEmmmmmmmmm,comdat
.Lfunc_end16:
	.size	_ZL10k_get_rowsILi32ELi2EXadL_ZL15dequantize_q4_1PKvliR15HIP_vector_typeIfLj2EEEEiEvS1_PKiPT2_llS2_IjLj3EEmmmmmmmmm, .Lfunc_end16-_ZL10k_get_rowsILi32ELi2EXadL_ZL15dequantize_q4_1PKvliR15HIP_vector_typeIfLj2EEEEiEvS1_PKiPT2_llS2_IjLj3EEmmmmmmmmm
                                        ; -- End function
	.set _ZL10k_get_rowsILi32ELi2EXadL_ZL15dequantize_q4_1PKvliR15HIP_vector_typeIfLj2EEEEiEvS1_PKiPT2_llS2_IjLj3EEmmmmmmmmm.num_vgpr, 19
	.set _ZL10k_get_rowsILi32ELi2EXadL_ZL15dequantize_q4_1PKvliR15HIP_vector_typeIfLj2EEEEiEvS1_PKiPT2_llS2_IjLj3EEmmmmmmmmm.num_agpr, 0
	.set _ZL10k_get_rowsILi32ELi2EXadL_ZL15dequantize_q4_1PKvliR15HIP_vector_typeIfLj2EEEEiEvS1_PKiPT2_llS2_IjLj3EEmmmmmmmmm.numbered_sgpr, 48
	.set _ZL10k_get_rowsILi32ELi2EXadL_ZL15dequantize_q4_1PKvliR15HIP_vector_typeIfLj2EEEEiEvS1_PKiPT2_llS2_IjLj3EEmmmmmmmmm.num_named_barrier, 0
	.set _ZL10k_get_rowsILi32ELi2EXadL_ZL15dequantize_q4_1PKvliR15HIP_vector_typeIfLj2EEEEiEvS1_PKiPT2_llS2_IjLj3EEmmmmmmmmm.private_seg_size, 0
	.set _ZL10k_get_rowsILi32ELi2EXadL_ZL15dequantize_q4_1PKvliR15HIP_vector_typeIfLj2EEEEiEvS1_PKiPT2_llS2_IjLj3EEmmmmmmmmm.uses_vcc, 1
	.set _ZL10k_get_rowsILi32ELi2EXadL_ZL15dequantize_q4_1PKvliR15HIP_vector_typeIfLj2EEEEiEvS1_PKiPT2_llS2_IjLj3EEmmmmmmmmm.uses_flat_scratch, 0
	.set _ZL10k_get_rowsILi32ELi2EXadL_ZL15dequantize_q4_1PKvliR15HIP_vector_typeIfLj2EEEEiEvS1_PKiPT2_llS2_IjLj3EEmmmmmmmmm.has_dyn_sized_stack, 0
	.set _ZL10k_get_rowsILi32ELi2EXadL_ZL15dequantize_q4_1PKvliR15HIP_vector_typeIfLj2EEEEiEvS1_PKiPT2_llS2_IjLj3EEmmmmmmmmm.has_recursion, 0
	.set _ZL10k_get_rowsILi32ELi2EXadL_ZL15dequantize_q4_1PKvliR15HIP_vector_typeIfLj2EEEEiEvS1_PKiPT2_llS2_IjLj3EEmmmmmmmmm.has_indirect_call, 0
	.section	.AMDGPU.csdata,"",@progbits
; Kernel info:
; codeLenInByte = 784
; TotalNumSgprs: 52
; NumVgprs: 19
; ScratchSize: 0
; MemoryBound: 0
; FloatMode: 240
; IeeeMode: 1
; LDSByteSize: 0 bytes/workgroup (compile time only)
; SGPRBlocks: 6
; VGPRBlocks: 4
; NumSGPRsForWavesPerEU: 52
; NumVGPRsForWavesPerEU: 19
; Occupancy: 10
; WaveLimiterHint : 1
; COMPUTE_PGM_RSRC2:SCRATCH_EN: 0
; COMPUTE_PGM_RSRC2:USER_SGPR: 6
; COMPUTE_PGM_RSRC2:TRAP_HANDLER: 0
; COMPUTE_PGM_RSRC2:TGID_X_EN: 1
; COMPUTE_PGM_RSRC2:TGID_Y_EN: 1
; COMPUTE_PGM_RSRC2:TGID_Z_EN: 1
; COMPUTE_PGM_RSRC2:TIDIG_COMP_CNT: 0
	.section	.text._ZL10k_get_rowsILi32ELi2EXadL_ZL15dequantize_q5_0PKvliR15HIP_vector_typeIfLj2EEEEiEvS1_PKiPT2_llS2_IjLj3EEmmmmmmmmm,"axG",@progbits,_ZL10k_get_rowsILi32ELi2EXadL_ZL15dequantize_q5_0PKvliR15HIP_vector_typeIfLj2EEEEiEvS1_PKiPT2_llS2_IjLj3EEmmmmmmmmm,comdat
	.globl	_ZL10k_get_rowsILi32ELi2EXadL_ZL15dequantize_q5_0PKvliR15HIP_vector_typeIfLj2EEEEiEvS1_PKiPT2_llS2_IjLj3EEmmmmmmmmm ; -- Begin function _ZL10k_get_rowsILi32ELi2EXadL_ZL15dequantize_q5_0PKvliR15HIP_vector_typeIfLj2EEEEiEvS1_PKiPT2_llS2_IjLj3EEmmmmmmmmm
	.p2align	8
	.type	_ZL10k_get_rowsILi32ELi2EXadL_ZL15dequantize_q5_0PKvliR15HIP_vector_typeIfLj2EEEEiEvS1_PKiPT2_llS2_IjLj3EEmmmmmmmmm,@function
_ZL10k_get_rowsILi32ELi2EXadL_ZL15dequantize_q5_0PKvliR15HIP_vector_typeIfLj2EEEEiEvS1_PKiPT2_llS2_IjLj3EEmmmmmmmmm: ; @_ZL10k_get_rowsILi32ELi2EXadL_ZL15dequantize_q5_0PKvliR15HIP_vector_typeIfLj2EEEEiEvS1_PKiPT2_llS2_IjLj3EEmmmmmmmmm
; %bb.0:
	s_load_dwordx4 s[28:31], s[4:5], 0x18
	s_load_dwordx2 s[2:3], s[4:5], 0x2c
	s_mov_b32 s9, 0
	v_mov_b32_e32 v1, s8
	v_mov_b32_e32 v2, s9
	s_waitcnt lgkmcnt(0)
	s_mul_i32 s0, s31, s3
	s_mul_hi_u32 s1, s30, s3
	s_add_i32 s11, s1, s0
	s_mul_i32 s10, s30, s3
	v_cmp_le_i64_e32 vcc, s[10:11], v[1:2]
	s_cbranch_vccnz .LBB17_6
; %bb.1:
	s_load_dwordx4 s[36:39], s[4:5], 0x0
	s_load_dwordx2 s[40:41], s[4:5], 0x10
	s_load_dwordx2 s[30:31], s[4:5], 0x78
	;; [unrolled: 1-line block ×3, first 2 shown]
	s_load_dword s33, s[4:5], 0x28
	s_load_dwordx16 s[12:27], s[4:5], 0x38
	s_add_u32 s4, s4, 0x80
	s_addc_u32 s5, s5, 0
	s_waitcnt lgkmcnt(0)
	s_and_b32 s35, s35, 0xffff
	s_mul_i32 s7, s7, s35
	v_add_lshl_u32 v0, s7, v0, 1
	s_ashr_i32 s7, s6, 31
	s_mul_hi_u32 s42, s24, s6
	s_mul_i32 s43, s24, s7
	s_add_i32 s42, s42, s43
	s_mul_i32 s25, s25, s6
	s_add_i32 s25, s42, s25
	s_mul_i32 s24, s24, s6
	s_lshl_b64 s[24:25], s[24:25], 2
	s_add_u32 s42, s38, s24
	s_mul_hi_u32 s24, s12, s6
	s_mul_i32 s7, s12, s7
	s_addc_u32 s43, s39, s25
	s_add_i32 s7, s24, s7
	s_mul_i32 s13, s13, s6
	s_add_i32 s7, s7, s13
	s_mul_i32 s6, s12, s6
	v_mov_b32_e32 v1, 0
	s_lshl_b64 s[6:7], s[6:7], 2
	v_cmp_gt_i64_e64 s[0:1], s[28:29], v[0:1]
	s_add_u32 s44, s40, s6
	v_lshlrev_b64 v[2:3], 27, v[0:1]
	s_addc_u32 s45, s41, s7
	s_mov_b32 s46, 0x1000706
	s_movk_i32 s47, 0xffe0
	s_mov_b64 s[6:7], s[8:9]
	s_branch .LBB17_3
.LBB17_2:                               ;   in Loop: Header=BB17_3 Depth=1
	s_or_b64 exec, exec, s[12:13]
	s_add_u32 s6, s6, s34
	v_mov_b32_e32 v4, s10
	s_addc_u32 s7, s7, 0
	v_mov_b32_e32 v5, s11
	v_cmp_ge_i64_e32 vcc, s[6:7], v[4:5]
	s_cbranch_vccnz .LBB17_6
.LBB17_3:                               ; =>This Loop Header: Depth=1
                                        ;     Child Loop BB17_5 Depth 2
	s_and_saveexec_b64 s[12:13], s[0:1]
	s_cbranch_execz .LBB17_2
; %bb.4:                                ;   in Loop: Header=BB17_3 Depth=1
	s_mul_hi_u32 s8, s6, s33
	s_add_i32 s8, s8, s6
	s_lshr_b32 s8, s8, s2
	s_mul_i32 s24, s8, s3
	s_sub_i32 s40, s6, s24
	s_ashr_i32 s41, s8, 31
	s_mul_i32 s24, s26, s41
	s_mul_hi_u32 s25, s26, s8
	s_ashr_i32 s49, s40, 31
	s_add_i32 s24, s25, s24
	s_mul_i32 s25, s27, s8
	s_mul_i32 s38, s30, s49
	s_mul_hi_u32 s39, s30, s40
	s_add_i32 s25, s24, s25
	s_mul_i32 s24, s26, s8
	s_add_i32 s38, s39, s38
	s_mul_i32 s39, s31, s40
	s_add_i32 s39, s38, s39
	s_lshl_b64 s[24:25], s[24:25], 2
	s_mul_i32 s38, s30, s40
	s_add_u32 s48, s42, s24
	s_addc_u32 s50, s43, s25
	s_lshl_b64 s[24:25], s[38:39], 2
	s_add_u32 s24, s48, s24
	s_addc_u32 s25, s50, s25
	s_load_dword s38, s[24:25], 0x0
	s_mul_i32 s24, s14, s41
	s_mul_hi_u32 s25, s14, s8
	s_add_i32 s24, s25, s24
	s_mul_i32 s25, s15, s8
	s_add_i32 s25, s24, s25
	s_mul_i32 s24, s14, s8
	s_waitcnt lgkmcnt(0)
	s_ashr_i32 s39, s38, 31
	s_lshl_b64 s[24:25], s[24:25], 2
	s_add_u32 s48, s44, s24
	s_addc_u32 s50, s45, s25
	s_mul_i32 s24, s16, s49
	s_mul_hi_u32 s25, s16, s40
	s_add_i32 s24, s25, s24
	s_mul_i32 s25, s17, s40
	s_add_i32 s25, s24, s25
	s_mul_i32 s24, s16, s40
	s_lshl_b64 s[24:25], s[24:25], 2
	s_add_u32 s48, s48, s24
	s_addc_u32 s50, s50, s25
	s_mul_i32 s24, s18, s39
	s_mul_hi_u32 s25, s18, s38
	s_add_i32 s24, s25, s24
	s_mul_i32 s25, s19, s38
	s_add_i32 s24, s24, s25
	s_mul_i32 s25, s18, s38
	s_add_u32 s25, s36, s25
	s_mul_i32 s38, s20, s41
	s_mul_hi_u32 s39, s20, s8
	s_addc_u32 s24, s37, s24
	s_add_i32 s38, s39, s38
	s_mul_i32 s39, s21, s8
	s_add_i32 s38, s38, s39
	s_mul_i32 s8, s20, s8
	s_load_dword s39, s[4:5], 0x4
	s_add_u32 s8, s25, s8
	s_addc_u32 s25, s24, s38
	s_mul_i32 s24, s22, s49
	s_mul_hi_u32 s38, s22, s40
	s_add_i32 s24, s38, s24
	s_mul_i32 s38, s23, s40
	s_add_i32 s38, s24, s38
	s_mul_i32 s24, s22, s40
	s_add_u32 s24, s8, s24
	s_waitcnt lgkmcnt(0)
	s_mul_i32 s8, s39, s35
	s_addc_u32 s25, s25, s38
	s_lshl_b64 s[38:39], s[8:9], 27
	v_mov_b32_e32 v5, v3
	v_mov_b32_e32 v7, v1
	s_mov_b64 s[40:41], 0
	v_mov_b32_e32 v8, s50
	v_mov_b32_e32 v9, s39
	;; [unrolled: 1-line block ×4, first 2 shown]
.LBB17_5:                               ;   Parent Loop BB17_3 Depth=1
                                        ; =>  This Inner Loop Header: Depth=2
	v_mad_i64_i32 v[10:11], s[50:51], v5, 22, s[24:25]
	v_bfe_u32 v12, v6, 1, 4
	v_add_u32_e32 v16, 12, v12
	global_load_dword v13, v[10:11], off
	global_load_ushort v14, v[10:11], off offset:4
	v_add_co_u32_e32 v10, vcc, v10, v12
	v_addc_co_u32_e32 v11, vcc, 0, v11, vcc
	global_load_ubyte v15, v[10:11], off offset:6
	v_and_or_b32 v10, v6, s47, v12
	v_add_co_u32_e32 v4, vcc, s38, v4
	v_addc_co_u32_e32 v5, vcc, v5, v9, vcc
	v_add_co_u32_e32 v6, vcc, s8, v6
	v_addc_co_u32_e32 v7, vcc, 0, v7, vcc
	v_ashrrev_i32_e32 v11, 31, v10
	v_cmp_le_i64_e32 vcc, s[28:29], v[6:7]
	v_lshlrev_b64 v[10:11], 2, v[10:11]
	s_or_b64 s[40:41], vcc, s[40:41]
	v_add_co_u32_e32 v10, vcc, s48, v10
	v_addc_co_u32_e32 v11, vcc, v8, v11, vcc
	s_waitcnt vmcnt(2)
	v_cvt_f32_f16_e32 v17, v13
	s_waitcnt vmcnt(1)
	v_perm_b32 v13, v13, v14, s46
	v_lshrrev_b32_e32 v12, v12, v13
	v_lshrrev_b32_e32 v13, v16, v13
	v_lshlrev_b32_e32 v12, 4, v12
	v_and_b32_e32 v13, 16, v13
	s_waitcnt vmcnt(0)
	v_lshrrev_b16_e32 v14, 4, v15
	v_or_b32_e32 v14, -16, v14
	v_or_b32_e32 v15, -16, v15
	v_and_b32_e32 v12, 16, v12
	v_add_u32_sdwa v13, v13, sext(v14) dst_sel:DWORD dst_unused:UNUSED_PAD src0_sel:DWORD src1_sel:WORD_0
	v_add_u32_e32 v12, v15, v12
	v_cvt_f32_i32_e32 v13, v13
	v_cvt_f32_i32_e32 v12, v12
	v_mul_f32_e32 v13, v17, v13
	v_mul_f32_e32 v12, v17, v12
	v_cvt_i32_f32_e32 v13, v13
	v_cvt_i32_f32_e32 v12, v12
	global_store_dword v[10:11], v13, off offset:64
	global_store_dword v[10:11], v12, off
	s_andn2_b64 exec, exec, s[40:41]
	s_cbranch_execnz .LBB17_5
	s_branch .LBB17_2
.LBB17_6:
	s_endpgm
	.section	.rodata,"a",@progbits
	.p2align	6, 0x0
	.amdhsa_kernel _ZL10k_get_rowsILi32ELi2EXadL_ZL15dequantize_q5_0PKvliR15HIP_vector_typeIfLj2EEEEiEvS1_PKiPT2_llS2_IjLj3EEmmmmmmmmm
		.amdhsa_group_segment_fixed_size 0
		.amdhsa_private_segment_fixed_size 0
		.amdhsa_kernarg_size 384
		.amdhsa_user_sgpr_count 6
		.amdhsa_user_sgpr_private_segment_buffer 1
		.amdhsa_user_sgpr_dispatch_ptr 0
		.amdhsa_user_sgpr_queue_ptr 0
		.amdhsa_user_sgpr_kernarg_segment_ptr 1
		.amdhsa_user_sgpr_dispatch_id 0
		.amdhsa_user_sgpr_flat_scratch_init 0
		.amdhsa_user_sgpr_private_segment_size 0
		.amdhsa_uses_dynamic_stack 0
		.amdhsa_system_sgpr_private_segment_wavefront_offset 0
		.amdhsa_system_sgpr_workgroup_id_x 1
		.amdhsa_system_sgpr_workgroup_id_y 1
		.amdhsa_system_sgpr_workgroup_id_z 1
		.amdhsa_system_sgpr_workgroup_info 0
		.amdhsa_system_vgpr_workitem_id 0
		.amdhsa_next_free_vgpr 18
		.amdhsa_next_free_sgpr 52
		.amdhsa_reserve_vcc 1
		.amdhsa_reserve_flat_scratch 0
		.amdhsa_float_round_mode_32 0
		.amdhsa_float_round_mode_16_64 0
		.amdhsa_float_denorm_mode_32 3
		.amdhsa_float_denorm_mode_16_64 3
		.amdhsa_dx10_clamp 1
		.amdhsa_ieee_mode 1
		.amdhsa_fp16_overflow 0
		.amdhsa_exception_fp_ieee_invalid_op 0
		.amdhsa_exception_fp_denorm_src 0
		.amdhsa_exception_fp_ieee_div_zero 0
		.amdhsa_exception_fp_ieee_overflow 0
		.amdhsa_exception_fp_ieee_underflow 0
		.amdhsa_exception_fp_ieee_inexact 0
		.amdhsa_exception_int_div_zero 0
	.end_amdhsa_kernel
	.section	.text._ZL10k_get_rowsILi32ELi2EXadL_ZL15dequantize_q5_0PKvliR15HIP_vector_typeIfLj2EEEEiEvS1_PKiPT2_llS2_IjLj3EEmmmmmmmmm,"axG",@progbits,_ZL10k_get_rowsILi32ELi2EXadL_ZL15dequantize_q5_0PKvliR15HIP_vector_typeIfLj2EEEEiEvS1_PKiPT2_llS2_IjLj3EEmmmmmmmmm,comdat
.Lfunc_end17:
	.size	_ZL10k_get_rowsILi32ELi2EXadL_ZL15dequantize_q5_0PKvliR15HIP_vector_typeIfLj2EEEEiEvS1_PKiPT2_llS2_IjLj3EEmmmmmmmmm, .Lfunc_end17-_ZL10k_get_rowsILi32ELi2EXadL_ZL15dequantize_q5_0PKvliR15HIP_vector_typeIfLj2EEEEiEvS1_PKiPT2_llS2_IjLj3EEmmmmmmmmm
                                        ; -- End function
	.set _ZL10k_get_rowsILi32ELi2EXadL_ZL15dequantize_q5_0PKvliR15HIP_vector_typeIfLj2EEEEiEvS1_PKiPT2_llS2_IjLj3EEmmmmmmmmm.num_vgpr, 18
	.set _ZL10k_get_rowsILi32ELi2EXadL_ZL15dequantize_q5_0PKvliR15HIP_vector_typeIfLj2EEEEiEvS1_PKiPT2_llS2_IjLj3EEmmmmmmmmm.num_agpr, 0
	.set _ZL10k_get_rowsILi32ELi2EXadL_ZL15dequantize_q5_0PKvliR15HIP_vector_typeIfLj2EEEEiEvS1_PKiPT2_llS2_IjLj3EEmmmmmmmmm.numbered_sgpr, 52
	.set _ZL10k_get_rowsILi32ELi2EXadL_ZL15dequantize_q5_0PKvliR15HIP_vector_typeIfLj2EEEEiEvS1_PKiPT2_llS2_IjLj3EEmmmmmmmmm.num_named_barrier, 0
	.set _ZL10k_get_rowsILi32ELi2EXadL_ZL15dequantize_q5_0PKvliR15HIP_vector_typeIfLj2EEEEiEvS1_PKiPT2_llS2_IjLj3EEmmmmmmmmm.private_seg_size, 0
	.set _ZL10k_get_rowsILi32ELi2EXadL_ZL15dequantize_q5_0PKvliR15HIP_vector_typeIfLj2EEEEiEvS1_PKiPT2_llS2_IjLj3EEmmmmmmmmm.uses_vcc, 1
	.set _ZL10k_get_rowsILi32ELi2EXadL_ZL15dequantize_q5_0PKvliR15HIP_vector_typeIfLj2EEEEiEvS1_PKiPT2_llS2_IjLj3EEmmmmmmmmm.uses_flat_scratch, 0
	.set _ZL10k_get_rowsILi32ELi2EXadL_ZL15dequantize_q5_0PKvliR15HIP_vector_typeIfLj2EEEEiEvS1_PKiPT2_llS2_IjLj3EEmmmmmmmmm.has_dyn_sized_stack, 0
	.set _ZL10k_get_rowsILi32ELi2EXadL_ZL15dequantize_q5_0PKvliR15HIP_vector_typeIfLj2EEEEiEvS1_PKiPT2_llS2_IjLj3EEmmmmmmmmm.has_recursion, 0
	.set _ZL10k_get_rowsILi32ELi2EXadL_ZL15dequantize_q5_0PKvliR15HIP_vector_typeIfLj2EEEEiEvS1_PKiPT2_llS2_IjLj3EEmmmmmmmmm.has_indirect_call, 0
	.section	.AMDGPU.csdata,"",@progbits
; Kernel info:
; codeLenInByte = 852
; TotalNumSgprs: 56
; NumVgprs: 18
; ScratchSize: 0
; MemoryBound: 0
; FloatMode: 240
; IeeeMode: 1
; LDSByteSize: 0 bytes/workgroup (compile time only)
; SGPRBlocks: 6
; VGPRBlocks: 4
; NumSGPRsForWavesPerEU: 56
; NumVGPRsForWavesPerEU: 18
; Occupancy: 10
; WaveLimiterHint : 1
; COMPUTE_PGM_RSRC2:SCRATCH_EN: 0
; COMPUTE_PGM_RSRC2:USER_SGPR: 6
; COMPUTE_PGM_RSRC2:TRAP_HANDLER: 0
; COMPUTE_PGM_RSRC2:TGID_X_EN: 1
; COMPUTE_PGM_RSRC2:TGID_Y_EN: 1
; COMPUTE_PGM_RSRC2:TGID_Z_EN: 1
; COMPUTE_PGM_RSRC2:TIDIG_COMP_CNT: 0
	.section	.text._ZL10k_get_rowsILi32ELi2EXadL_ZL15dequantize_q5_1PKvliR15HIP_vector_typeIfLj2EEEEiEvS1_PKiPT2_llS2_IjLj3EEmmmmmmmmm,"axG",@progbits,_ZL10k_get_rowsILi32ELi2EXadL_ZL15dequantize_q5_1PKvliR15HIP_vector_typeIfLj2EEEEiEvS1_PKiPT2_llS2_IjLj3EEmmmmmmmmm,comdat
	.globl	_ZL10k_get_rowsILi32ELi2EXadL_ZL15dequantize_q5_1PKvliR15HIP_vector_typeIfLj2EEEEiEvS1_PKiPT2_llS2_IjLj3EEmmmmmmmmm ; -- Begin function _ZL10k_get_rowsILi32ELi2EXadL_ZL15dequantize_q5_1PKvliR15HIP_vector_typeIfLj2EEEEiEvS1_PKiPT2_llS2_IjLj3EEmmmmmmmmm
	.p2align	8
	.type	_ZL10k_get_rowsILi32ELi2EXadL_ZL15dequantize_q5_1PKvliR15HIP_vector_typeIfLj2EEEEiEvS1_PKiPT2_llS2_IjLj3EEmmmmmmmmm,@function
_ZL10k_get_rowsILi32ELi2EXadL_ZL15dequantize_q5_1PKvliR15HIP_vector_typeIfLj2EEEEiEvS1_PKiPT2_llS2_IjLj3EEmmmmmmmmm: ; @_ZL10k_get_rowsILi32ELi2EXadL_ZL15dequantize_q5_1PKvliR15HIP_vector_typeIfLj2EEEEiEvS1_PKiPT2_llS2_IjLj3EEmmmmmmmmm
; %bb.0:
	s_load_dwordx4 s[28:31], s[4:5], 0x18
	s_load_dwordx2 s[2:3], s[4:5], 0x2c
	s_mov_b32 s9, 0
	v_mov_b32_e32 v1, s8
	v_mov_b32_e32 v2, s9
	s_waitcnt lgkmcnt(0)
	s_mul_i32 s0, s31, s3
	s_mul_hi_u32 s1, s30, s3
	s_add_i32 s35, s1, s0
	s_mul_i32 s34, s30, s3
	v_cmp_le_i64_e32 vcc, s[34:35], v[1:2]
	s_cbranch_vccnz .LBB18_6
; %bb.1:
	s_load_dwordx4 s[36:39], s[4:5], 0x0
	s_load_dwordx2 s[42:43], s[4:5], 0x10
	s_load_dwordx2 s[10:11], s[4:5], 0x78
	s_load_dwordx2 s[30:31], s[4:5], 0x88
	s_load_dword s33, s[4:5], 0x28
	s_load_dwordx16 s[12:27], s[4:5], 0x38
	s_add_u32 s4, s4, 0x80
	s_addc_u32 s5, s5, 0
	s_waitcnt lgkmcnt(0)
	s_and_b32 s31, s31, 0xffff
	s_mul_i32 s7, s7, s31
	v_add_lshl_u32 v0, s7, v0, 1
	s_ashr_i32 s7, s6, 31
	s_mul_hi_u32 s40, s24, s6
	s_mul_i32 s41, s24, s7
	s_add_i32 s40, s40, s41
	s_mul_i32 s25, s25, s6
	s_add_i32 s25, s40, s25
	s_mul_i32 s24, s24, s6
	s_lshl_b64 s[24:25], s[24:25], 2
	s_add_u32 s40, s38, s24
	s_mul_hi_u32 s24, s12, s6
	s_mul_i32 s7, s12, s7
	s_addc_u32 s41, s39, s25
	s_add_i32 s7, s24, s7
	s_mul_i32 s13, s13, s6
	s_add_i32 s7, s7, s13
	s_mul_i32 s6, s12, s6
	v_mov_b32_e32 v1, 0
	s_lshl_b64 s[6:7], s[6:7], 2
	v_cmp_gt_i64_e64 s[0:1], s[28:29], v[0:1]
	s_add_u32 s42, s42, s6
	v_lshlrev_b64 v[2:3], 27, v[0:1]
	v_mov_b32_e32 v4, s34
	s_addc_u32 s43, s43, s7
	s_movk_i32 s44, 0xffe0
	v_mov_b32_e32 v5, s35
	s_mov_b64 s[6:7], s[8:9]
	s_branch .LBB18_3
.LBB18_2:                               ;   in Loop: Header=BB18_3 Depth=1
	s_or_b64 exec, exec, s[12:13]
	s_add_u32 s6, s6, s30
	s_addc_u32 s7, s7, 0
	v_cmp_ge_i64_e32 vcc, s[6:7], v[4:5]
	s_cbranch_vccnz .LBB18_6
.LBB18_3:                               ; =>This Loop Header: Depth=1
                                        ;     Child Loop BB18_5 Depth 2
	s_and_saveexec_b64 s[12:13], s[0:1]
	s_cbranch_execz .LBB18_2
; %bb.4:                                ;   in Loop: Header=BB18_3 Depth=1
	s_mul_hi_u32 s8, s6, s33
	s_add_i32 s8, s8, s6
	s_lshr_b32 s8, s8, s2
	s_mul_i32 s24, s8, s3
	s_sub_i32 s38, s6, s24
	s_ashr_i32 s39, s8, 31
	s_mul_i32 s24, s26, s39
	s_mul_hi_u32 s25, s26, s8
	s_ashr_i32 s46, s38, 31
	s_add_i32 s24, s25, s24
	s_mul_i32 s25, s27, s8
	s_mul_i32 s34, s10, s46
	s_mul_hi_u32 s35, s10, s38
	s_add_i32 s25, s24, s25
	s_mul_i32 s24, s26, s8
	s_add_i32 s34, s35, s34
	s_mul_i32 s35, s11, s38
	s_add_i32 s35, s34, s35
	s_lshl_b64 s[24:25], s[24:25], 2
	s_mul_i32 s34, s10, s38
	s_add_u32 s45, s40, s24
	s_addc_u32 s47, s41, s25
	s_lshl_b64 s[24:25], s[34:35], 2
	s_add_u32 s24, s45, s24
	s_addc_u32 s25, s47, s25
	s_load_dword s34, s[24:25], 0x0
	s_mul_i32 s24, s14, s39
	s_mul_hi_u32 s25, s14, s8
	s_add_i32 s24, s25, s24
	s_mul_i32 s25, s15, s8
	s_add_i32 s25, s24, s25
	s_mul_i32 s24, s14, s8
	s_waitcnt lgkmcnt(0)
	s_ashr_i32 s35, s34, 31
	s_lshl_b64 s[24:25], s[24:25], 2
	s_add_u32 s45, s42, s24
	s_addc_u32 s47, s43, s25
	s_mul_i32 s24, s16, s46
	s_mul_hi_u32 s25, s16, s38
	s_add_i32 s24, s25, s24
	s_mul_i32 s25, s17, s38
	s_add_i32 s25, s24, s25
	s_mul_i32 s24, s16, s38
	s_lshl_b64 s[24:25], s[24:25], 2
	s_add_u32 s45, s45, s24
	s_addc_u32 s47, s47, s25
	s_mul_i32 s24, s18, s35
	s_mul_hi_u32 s25, s18, s34
	s_add_i32 s24, s25, s24
	s_mul_i32 s25, s19, s34
	s_add_i32 s24, s24, s25
	s_mul_i32 s25, s18, s34
	s_add_u32 s25, s36, s25
	s_mul_i32 s34, s20, s39
	s_mul_hi_u32 s35, s20, s8
	s_addc_u32 s24, s37, s24
	s_add_i32 s34, s35, s34
	s_mul_i32 s35, s21, s8
	s_add_i32 s34, s34, s35
	s_mul_i32 s8, s20, s8
	s_load_dword s35, s[4:5], 0x4
	s_add_u32 s8, s25, s8
	s_addc_u32 s25, s24, s34
	s_mul_i32 s24, s22, s46
	s_mul_hi_u32 s34, s22, s38
	s_add_i32 s24, s34, s24
	s_mul_i32 s34, s23, s38
	s_add_i32 s34, s24, s34
	s_mul_i32 s24, s22, s38
	s_add_u32 s24, s8, s24
	s_waitcnt lgkmcnt(0)
	s_mul_i32 s8, s35, s31
	s_addc_u32 s25, s25, s34
	s_lshl_b64 s[34:35], s[8:9], 27
	v_mov_b32_e32 v7, v3
	v_mov_b32_e32 v9, v1
	s_mov_b64 s[38:39], 0
	v_mov_b32_e32 v10, s47
	v_mov_b32_e32 v11, s35
	;; [unrolled: 1-line block ×4, first 2 shown]
.LBB18_5:                               ;   Parent Loop BB18_3 Depth=1
                                        ; =>  This Inner Loop Header: Depth=2
	v_mad_i64_i32 v[12:13], s[46:47], v7, 24, s[24:25]
	v_bfe_u32 v16, v8, 1, 4
	v_add_u32_e32 v18, 12, v16
	global_load_dwordx2 v[14:15], v[12:13], off
	v_add_co_u32_e32 v12, vcc, v12, v16
	v_addc_co_u32_e32 v13, vcc, 0, v13, vcc
	global_load_ubyte v17, v[12:13], off offset:8
	v_and_or_b32 v12, v8, s44, v16
	v_add_co_u32_e32 v6, vcc, s34, v6
	v_addc_co_u32_e32 v7, vcc, v7, v11, vcc
	v_add_co_u32_e32 v8, vcc, s8, v8
	v_addc_co_u32_e32 v9, vcc, 0, v9, vcc
	v_ashrrev_i32_e32 v13, 31, v12
	v_cmp_le_i64_e32 vcc, s[28:29], v[8:9]
	v_lshlrev_b64 v[12:13], 2, v[12:13]
	s_or_b64 s[38:39], vcc, s[38:39]
	v_add_co_u32_e32 v12, vcc, s45, v12
	v_addc_co_u32_e32 v13, vcc, v10, v13, vcc
	s_waitcnt vmcnt(1)
	v_lshrrev_b32_e32 v16, v16, v15
	v_lshrrev_b32_e32 v15, v18, v15
	v_lshlrev_b32_e32 v16, 4, v16
	s_waitcnt vmcnt(0)
	v_and_b32_e32 v18, 15, v17
	v_lshrrev_b16_e32 v17, 4, v17
	v_and_or_b32 v16, v16, 16, v18
	v_and_or_b32 v15, v15, 16, v17
	v_cvt_f32_ubyte0_e32 v16, v16
	v_cvt_f32_ubyte0_e32 v15, v15
	v_fma_mix_f32 v16, v14, v16, v14 op_sel:[0,0,1] op_sel_hi:[1,0,1]
	v_fma_mix_f32 v14, v14, v15, v14 op_sel:[0,0,1] op_sel_hi:[1,0,1]
	v_cvt_i32_f32_e32 v15, v16
	v_cvt_i32_f32_e32 v14, v14
	global_store_dword v[12:13], v15, off
	global_store_dword v[12:13], v14, off offset:64
	s_andn2_b64 exec, exec, s[38:39]
	s_cbranch_execnz .LBB18_5
	s_branch .LBB18_2
.LBB18_6:
	s_endpgm
	.section	.rodata,"a",@progbits
	.p2align	6, 0x0
	.amdhsa_kernel _ZL10k_get_rowsILi32ELi2EXadL_ZL15dequantize_q5_1PKvliR15HIP_vector_typeIfLj2EEEEiEvS1_PKiPT2_llS2_IjLj3EEmmmmmmmmm
		.amdhsa_group_segment_fixed_size 0
		.amdhsa_private_segment_fixed_size 0
		.amdhsa_kernarg_size 384
		.amdhsa_user_sgpr_count 6
		.amdhsa_user_sgpr_private_segment_buffer 1
		.amdhsa_user_sgpr_dispatch_ptr 0
		.amdhsa_user_sgpr_queue_ptr 0
		.amdhsa_user_sgpr_kernarg_segment_ptr 1
		.amdhsa_user_sgpr_dispatch_id 0
		.amdhsa_user_sgpr_flat_scratch_init 0
		.amdhsa_user_sgpr_private_segment_size 0
		.amdhsa_uses_dynamic_stack 0
		.amdhsa_system_sgpr_private_segment_wavefront_offset 0
		.amdhsa_system_sgpr_workgroup_id_x 1
		.amdhsa_system_sgpr_workgroup_id_y 1
		.amdhsa_system_sgpr_workgroup_id_z 1
		.amdhsa_system_sgpr_workgroup_info 0
		.amdhsa_system_vgpr_workitem_id 0
		.amdhsa_next_free_vgpr 19
		.amdhsa_next_free_sgpr 48
		.amdhsa_reserve_vcc 1
		.amdhsa_reserve_flat_scratch 0
		.amdhsa_float_round_mode_32 0
		.amdhsa_float_round_mode_16_64 0
		.amdhsa_float_denorm_mode_32 3
		.amdhsa_float_denorm_mode_16_64 3
		.amdhsa_dx10_clamp 1
		.amdhsa_ieee_mode 1
		.amdhsa_fp16_overflow 0
		.amdhsa_exception_fp_ieee_invalid_op 0
		.amdhsa_exception_fp_denorm_src 0
		.amdhsa_exception_fp_ieee_div_zero 0
		.amdhsa_exception_fp_ieee_overflow 0
		.amdhsa_exception_fp_ieee_underflow 0
		.amdhsa_exception_fp_ieee_inexact 0
		.amdhsa_exception_int_div_zero 0
	.end_amdhsa_kernel
	.section	.text._ZL10k_get_rowsILi32ELi2EXadL_ZL15dequantize_q5_1PKvliR15HIP_vector_typeIfLj2EEEEiEvS1_PKiPT2_llS2_IjLj3EEmmmmmmmmm,"axG",@progbits,_ZL10k_get_rowsILi32ELi2EXadL_ZL15dequantize_q5_1PKvliR15HIP_vector_typeIfLj2EEEEiEvS1_PKiPT2_llS2_IjLj3EEmmmmmmmmm,comdat
.Lfunc_end18:
	.size	_ZL10k_get_rowsILi32ELi2EXadL_ZL15dequantize_q5_1PKvliR15HIP_vector_typeIfLj2EEEEiEvS1_PKiPT2_llS2_IjLj3EEmmmmmmmmm, .Lfunc_end18-_ZL10k_get_rowsILi32ELi2EXadL_ZL15dequantize_q5_1PKvliR15HIP_vector_typeIfLj2EEEEiEvS1_PKiPT2_llS2_IjLj3EEmmmmmmmmm
                                        ; -- End function
	.set _ZL10k_get_rowsILi32ELi2EXadL_ZL15dequantize_q5_1PKvliR15HIP_vector_typeIfLj2EEEEiEvS1_PKiPT2_llS2_IjLj3EEmmmmmmmmm.num_vgpr, 19
	.set _ZL10k_get_rowsILi32ELi2EXadL_ZL15dequantize_q5_1PKvliR15HIP_vector_typeIfLj2EEEEiEvS1_PKiPT2_llS2_IjLj3EEmmmmmmmmm.num_agpr, 0
	.set _ZL10k_get_rowsILi32ELi2EXadL_ZL15dequantize_q5_1PKvliR15HIP_vector_typeIfLj2EEEEiEvS1_PKiPT2_llS2_IjLj3EEmmmmmmmmm.numbered_sgpr, 48
	.set _ZL10k_get_rowsILi32ELi2EXadL_ZL15dequantize_q5_1PKvliR15HIP_vector_typeIfLj2EEEEiEvS1_PKiPT2_llS2_IjLj3EEmmmmmmmmm.num_named_barrier, 0
	.set _ZL10k_get_rowsILi32ELi2EXadL_ZL15dequantize_q5_1PKvliR15HIP_vector_typeIfLj2EEEEiEvS1_PKiPT2_llS2_IjLj3EEmmmmmmmmm.private_seg_size, 0
	.set _ZL10k_get_rowsILi32ELi2EXadL_ZL15dequantize_q5_1PKvliR15HIP_vector_typeIfLj2EEEEiEvS1_PKiPT2_llS2_IjLj3EEmmmmmmmmm.uses_vcc, 1
	.set _ZL10k_get_rowsILi32ELi2EXadL_ZL15dequantize_q5_1PKvliR15HIP_vector_typeIfLj2EEEEiEvS1_PKiPT2_llS2_IjLj3EEmmmmmmmmm.uses_flat_scratch, 0
	.set _ZL10k_get_rowsILi32ELi2EXadL_ZL15dequantize_q5_1PKvliR15HIP_vector_typeIfLj2EEEEiEvS1_PKiPT2_llS2_IjLj3EEmmmmmmmmm.has_dyn_sized_stack, 0
	.set _ZL10k_get_rowsILi32ELi2EXadL_ZL15dequantize_q5_1PKvliR15HIP_vector_typeIfLj2EEEEiEvS1_PKiPT2_llS2_IjLj3EEmmmmmmmmm.has_recursion, 0
	.set _ZL10k_get_rowsILi32ELi2EXadL_ZL15dequantize_q5_1PKvliR15HIP_vector_typeIfLj2EEEEiEvS1_PKiPT2_llS2_IjLj3EEmmmmmmmmm.has_indirect_call, 0
	.section	.AMDGPU.csdata,"",@progbits
; Kernel info:
; codeLenInByte = 820
; TotalNumSgprs: 52
; NumVgprs: 19
; ScratchSize: 0
; MemoryBound: 0
; FloatMode: 240
; IeeeMode: 1
; LDSByteSize: 0 bytes/workgroup (compile time only)
; SGPRBlocks: 6
; VGPRBlocks: 4
; NumSGPRsForWavesPerEU: 52
; NumVGPRsForWavesPerEU: 19
; Occupancy: 10
; WaveLimiterHint : 1
; COMPUTE_PGM_RSRC2:SCRATCH_EN: 0
; COMPUTE_PGM_RSRC2:USER_SGPR: 6
; COMPUTE_PGM_RSRC2:TRAP_HANDLER: 0
; COMPUTE_PGM_RSRC2:TGID_X_EN: 1
; COMPUTE_PGM_RSRC2:TGID_Y_EN: 1
; COMPUTE_PGM_RSRC2:TGID_Z_EN: 1
; COMPUTE_PGM_RSRC2:TIDIG_COMP_CNT: 0
	.section	.text._ZL10k_get_rowsILi32ELi1EXadL_ZL15dequantize_q8_0PKvliR15HIP_vector_typeIfLj2EEEEiEvS1_PKiPT2_llS2_IjLj3EEmmmmmmmmm,"axG",@progbits,_ZL10k_get_rowsILi32ELi1EXadL_ZL15dequantize_q8_0PKvliR15HIP_vector_typeIfLj2EEEEiEvS1_PKiPT2_llS2_IjLj3EEmmmmmmmmm,comdat
	.globl	_ZL10k_get_rowsILi32ELi1EXadL_ZL15dequantize_q8_0PKvliR15HIP_vector_typeIfLj2EEEEiEvS1_PKiPT2_llS2_IjLj3EEmmmmmmmmm ; -- Begin function _ZL10k_get_rowsILi32ELi1EXadL_ZL15dequantize_q8_0PKvliR15HIP_vector_typeIfLj2EEEEiEvS1_PKiPT2_llS2_IjLj3EEmmmmmmmmm
	.p2align	8
	.type	_ZL10k_get_rowsILi32ELi1EXadL_ZL15dequantize_q8_0PKvliR15HIP_vector_typeIfLj2EEEEiEvS1_PKiPT2_llS2_IjLj3EEmmmmmmmmm,@function
_ZL10k_get_rowsILi32ELi1EXadL_ZL15dequantize_q8_0PKvliR15HIP_vector_typeIfLj2EEEEiEvS1_PKiPT2_llS2_IjLj3EEmmmmmmmmm: ; @_ZL10k_get_rowsILi32ELi1EXadL_ZL15dequantize_q8_0PKvliR15HIP_vector_typeIfLj2EEEEiEvS1_PKiPT2_llS2_IjLj3EEmmmmmmmmm
; %bb.0:
	s_load_dwordx4 s[28:31], s[4:5], 0x18
	s_load_dwordx2 s[10:11], s[4:5], 0x2c
	s_mov_b32 s9, 0
	v_mov_b32_e32 v1, s8
	v_mov_b32_e32 v2, s9
	s_waitcnt lgkmcnt(0)
	s_mul_i32 s0, s31, s11
	s_mul_hi_u32 s1, s30, s11
	s_add_i32 s31, s1, s0
	s_mul_i32 s30, s30, s11
	v_cmp_le_i64_e32 vcc, s[30:31], v[1:2]
	s_cbranch_vccnz .LBB19_6
; %bb.1:
	s_load_dwordx4 s[36:39], s[4:5], 0x0
	s_load_dwordx2 s[2:3], s[4:5], 0x10
	s_load_dwordx2 s[34:35], s[4:5], 0x78
	;; [unrolled: 1-line block ×3, first 2 shown]
	s_load_dword s33, s[4:5], 0x28
	s_load_dwordx16 s[12:27], s[4:5], 0x38
	s_add_u32 s4, s4, 0x80
	s_addc_u32 s5, s5, 0
	s_waitcnt lgkmcnt(0)
	s_and_b32 s41, s41, 0xffff
	s_mul_i32 s7, s7, s41
	v_add_lshl_u32 v0, s7, v0, 1
	s_ashr_i32 s7, s6, 31
	s_mul_hi_u32 s42, s24, s6
	s_mul_i32 s43, s24, s7
	s_add_i32 s42, s42, s43
	s_mul_i32 s25, s25, s6
	s_add_i32 s25, s42, s25
	s_mul_i32 s24, s24, s6
	s_lshl_b64 s[24:25], s[24:25], 2
	s_add_u32 s44, s38, s24
	s_mul_hi_u32 s24, s12, s6
	s_mul_i32 s7, s12, s7
	s_addc_u32 s45, s39, s25
	s_add_i32 s7, s24, s7
	s_mul_i32 s13, s13, s6
	s_add_i32 s7, s7, s13
	s_mul_i32 s6, s12, s6
	v_mov_b32_e32 v1, 0
	s_lshl_b64 s[6:7], s[6:7], 2
	v_cmp_gt_i64_e64 s[0:1], s[28:29], v[0:1]
	s_add_u32 s46, s2, s6
	v_lshlrev_b64 v[2:3], 27, v[0:1]
	s_addc_u32 s47, s3, s7
	v_mov_b32_e32 v4, v1
	v_mov_b32_e32 v5, v0
	s_mov_b64 s[6:7], s[8:9]
	s_branch .LBB19_3
.LBB19_2:                               ;   in Loop: Header=BB19_3 Depth=1
	s_or_b64 exec, exec, s[12:13]
	s_add_u32 s6, s6, s40
	v_mov_b32_e32 v6, s30
	s_addc_u32 s7, s7, 0
	v_mov_b32_e32 v7, s31
	v_cmp_ge_i64_e32 vcc, s[6:7], v[6:7]
	s_cbranch_vccnz .LBB19_6
.LBB19_3:                               ; =>This Loop Header: Depth=1
                                        ;     Child Loop BB19_5 Depth 2
	s_and_saveexec_b64 s[12:13], s[0:1]
	s_cbranch_execz .LBB19_2
; %bb.4:                                ;   in Loop: Header=BB19_3 Depth=1
	s_mul_hi_u32 s2, s6, s33
	s_add_i32 s2, s2, s6
	s_lshr_b32 s8, s2, s10
	s_mul_i32 s2, s8, s11
	s_sub_i32 s38, s6, s2
	s_ashr_i32 s39, s8, 31
	s_mul_i32 s2, s26, s39
	s_mul_hi_u32 s3, s26, s8
	s_ashr_i32 s42, s38, 31
	s_add_i32 s2, s3, s2
	s_mul_i32 s3, s27, s8
	s_mul_i32 s24, s34, s42
	s_mul_hi_u32 s25, s34, s38
	s_add_i32 s3, s2, s3
	s_mul_i32 s2, s26, s8
	s_add_i32 s24, s25, s24
	s_mul_i32 s25, s35, s38
	s_add_i32 s25, s24, s25
	s_lshl_b64 s[2:3], s[2:3], 2
	s_mul_i32 s24, s34, s38
	s_add_u32 s43, s44, s2
	s_addc_u32 s48, s45, s3
	s_lshl_b64 s[2:3], s[24:25], 2
	s_add_u32 s2, s43, s2
	s_addc_u32 s3, s48, s3
	s_load_dword s24, s[2:3], 0x0
	s_mul_i32 s2, s14, s39
	s_mul_hi_u32 s3, s14, s8
	s_add_i32 s2, s3, s2
	s_mul_i32 s3, s15, s8
	s_add_i32 s3, s2, s3
	s_mul_i32 s2, s14, s8
	s_waitcnt lgkmcnt(0)
	s_ashr_i32 s25, s24, 31
	s_lshl_b64 s[2:3], s[2:3], 2
	s_add_u32 s43, s46, s2
	s_addc_u32 s49, s47, s3
	s_mul_i32 s2, s16, s42
	s_mul_hi_u32 s3, s16, s38
	s_add_i32 s2, s3, s2
	s_mul_i32 s3, s17, s38
	s_add_i32 s3, s2, s3
	s_mul_i32 s2, s16, s38
	s_lshl_b64 s[2:3], s[2:3], 2
	s_add_u32 s48, s43, s2
	s_addc_u32 s2, s49, s3
	s_mul_i32 s3, s18, s25
	s_mul_hi_u32 s25, s18, s24
	s_add_i32 s3, s25, s3
	s_mul_i32 s25, s19, s24
	s_add_i32 s3, s3, s25
	s_mul_i32 s24, s18, s24
	s_add_u32 s24, s36, s24
	s_mul_i32 s25, s20, s39
	s_mul_hi_u32 s39, s20, s8
	s_addc_u32 s3, s37, s3
	s_add_i32 s25, s39, s25
	s_mul_i32 s39, s21, s8
	s_add_i32 s25, s25, s39
	s_mul_i32 s8, s20, s8
	s_load_dword s39, s[4:5], 0x4
	s_add_u32 s8, s24, s8
	s_addc_u32 s3, s3, s25
	s_mul_i32 s24, s22, s42
	s_mul_hi_u32 s25, s22, s38
	s_add_i32 s24, s25, s24
	s_mul_i32 s25, s23, s38
	s_add_i32 s25, s24, s25
	s_mul_i32 s24, s22, s38
	s_add_u32 s24, s8, s24
	s_waitcnt lgkmcnt(0)
	s_mul_i32 s8, s39, s41
	s_addc_u32 s25, s3, s25
	s_lshl_b64 s[38:39], s[8:9], 27
	v_mov_b32_e32 v7, v5
	v_mov_b32_e32 v9, v3
	;; [unrolled: 1-line block ×3, first 2 shown]
	s_mov_b64 s[42:43], 0
	v_mov_b32_e32 v12, s2
	v_mov_b32_e32 v13, s39
	;; [unrolled: 1-line block ×6, first 2 shown]
.LBB19_5:                               ;   Parent Loop BB19_3 Depth=1
                                        ; =>  This Inner Loop Header: Depth=2
	v_mad_i64_i32 v[15:16], s[2:3], v9, 34, s[24:25]
	v_and_b32_e32 v17, 31, v10
	v_add_co_u32_e32 v17, vcc, v15, v17
	v_addc_co_u32_e32 v18, vcc, 0, v16, vcc
	global_load_ushort v19, v[15:16], off
	global_load_ushort v20, v[17:18], off offset:2
	v_add_co_u32_e32 v10, vcc, s8, v10
	v_addc_co_u32_e32 v11, vcc, 0, v11, vcc
	v_add_co_u32_e32 v8, vcc, s38, v8
	v_addc_co_u32_e32 v9, vcc, v9, v13, vcc
	v_ashrrev_i64 v[15:16], 30, v[6:7]
	v_add_co_u32_e32 v6, vcc, 0, v6
	v_addc_co_u32_e32 v7, vcc, v7, v14, vcc
	v_cmp_le_i64_e32 vcc, s[28:29], v[10:11]
	v_add_co_u32_e64 v15, s[2:3], s48, v15
	v_addc_co_u32_e64 v16, s[2:3], v12, v16, s[2:3]
	s_or_b64 s[42:43], vcc, s[42:43]
	s_waitcnt vmcnt(1)
	v_cvt_f32_f16_e32 v17, v19
	s_waitcnt vmcnt(0)
	v_bfe_i32 v18, v20, 0, 8
	v_ashrrev_i16_e32 v19, 8, v20
	v_cvt_f32_i32_sdwa v18, sext(v18) dst_sel:DWORD dst_unused:UNUSED_PAD src0_sel:WORD_0
	v_cvt_f32_i32_sdwa v19, sext(v19) dst_sel:DWORD dst_unused:UNUSED_PAD src0_sel:WORD_0
	v_mul_f32_e32 v18, v17, v18
	v_mul_f32_e32 v19, v17, v19
	v_cvt_i32_f32_e32 v17, v18
	v_cvt_i32_f32_e32 v18, v19
	global_store_dwordx2 v[15:16], v[17:18], off
	s_andn2_b64 exec, exec, s[42:43]
	s_cbranch_execnz .LBB19_5
	s_branch .LBB19_2
.LBB19_6:
	s_endpgm
	.section	.rodata,"a",@progbits
	.p2align	6, 0x0
	.amdhsa_kernel _ZL10k_get_rowsILi32ELi1EXadL_ZL15dequantize_q8_0PKvliR15HIP_vector_typeIfLj2EEEEiEvS1_PKiPT2_llS2_IjLj3EEmmmmmmmmm
		.amdhsa_group_segment_fixed_size 0
		.amdhsa_private_segment_fixed_size 0
		.amdhsa_kernarg_size 384
		.amdhsa_user_sgpr_count 6
		.amdhsa_user_sgpr_private_segment_buffer 1
		.amdhsa_user_sgpr_dispatch_ptr 0
		.amdhsa_user_sgpr_queue_ptr 0
		.amdhsa_user_sgpr_kernarg_segment_ptr 1
		.amdhsa_user_sgpr_dispatch_id 0
		.amdhsa_user_sgpr_flat_scratch_init 0
		.amdhsa_user_sgpr_private_segment_size 0
		.amdhsa_uses_dynamic_stack 0
		.amdhsa_system_sgpr_private_segment_wavefront_offset 0
		.amdhsa_system_sgpr_workgroup_id_x 1
		.amdhsa_system_sgpr_workgroup_id_y 1
		.amdhsa_system_sgpr_workgroup_id_z 1
		.amdhsa_system_sgpr_workgroup_info 0
		.amdhsa_system_vgpr_workitem_id 0
		.amdhsa_next_free_vgpr 21
		.amdhsa_next_free_sgpr 50
		.amdhsa_reserve_vcc 1
		.amdhsa_reserve_flat_scratch 0
		.amdhsa_float_round_mode_32 0
		.amdhsa_float_round_mode_16_64 0
		.amdhsa_float_denorm_mode_32 3
		.amdhsa_float_denorm_mode_16_64 3
		.amdhsa_dx10_clamp 1
		.amdhsa_ieee_mode 1
		.amdhsa_fp16_overflow 0
		.amdhsa_exception_fp_ieee_invalid_op 0
		.amdhsa_exception_fp_denorm_src 0
		.amdhsa_exception_fp_ieee_div_zero 0
		.amdhsa_exception_fp_ieee_overflow 0
		.amdhsa_exception_fp_ieee_underflow 0
		.amdhsa_exception_fp_ieee_inexact 0
		.amdhsa_exception_int_div_zero 0
	.end_amdhsa_kernel
	.section	.text._ZL10k_get_rowsILi32ELi1EXadL_ZL15dequantize_q8_0PKvliR15HIP_vector_typeIfLj2EEEEiEvS1_PKiPT2_llS2_IjLj3EEmmmmmmmmm,"axG",@progbits,_ZL10k_get_rowsILi32ELi1EXadL_ZL15dequantize_q8_0PKvliR15HIP_vector_typeIfLj2EEEEiEvS1_PKiPT2_llS2_IjLj3EEmmmmmmmmm,comdat
.Lfunc_end19:
	.size	_ZL10k_get_rowsILi32ELi1EXadL_ZL15dequantize_q8_0PKvliR15HIP_vector_typeIfLj2EEEEiEvS1_PKiPT2_llS2_IjLj3EEmmmmmmmmm, .Lfunc_end19-_ZL10k_get_rowsILi32ELi1EXadL_ZL15dequantize_q8_0PKvliR15HIP_vector_typeIfLj2EEEEiEvS1_PKiPT2_llS2_IjLj3EEmmmmmmmmm
                                        ; -- End function
	.set _ZL10k_get_rowsILi32ELi1EXadL_ZL15dequantize_q8_0PKvliR15HIP_vector_typeIfLj2EEEEiEvS1_PKiPT2_llS2_IjLj3EEmmmmmmmmm.num_vgpr, 21
	.set _ZL10k_get_rowsILi32ELi1EXadL_ZL15dequantize_q8_0PKvliR15HIP_vector_typeIfLj2EEEEiEvS1_PKiPT2_llS2_IjLj3EEmmmmmmmmm.num_agpr, 0
	.set _ZL10k_get_rowsILi32ELi1EXadL_ZL15dequantize_q8_0PKvliR15HIP_vector_typeIfLj2EEEEiEvS1_PKiPT2_llS2_IjLj3EEmmmmmmmmm.numbered_sgpr, 50
	.set _ZL10k_get_rowsILi32ELi1EXadL_ZL15dequantize_q8_0PKvliR15HIP_vector_typeIfLj2EEEEiEvS1_PKiPT2_llS2_IjLj3EEmmmmmmmmm.num_named_barrier, 0
	.set _ZL10k_get_rowsILi32ELi1EXadL_ZL15dequantize_q8_0PKvliR15HIP_vector_typeIfLj2EEEEiEvS1_PKiPT2_llS2_IjLj3EEmmmmmmmmm.private_seg_size, 0
	.set _ZL10k_get_rowsILi32ELi1EXadL_ZL15dequantize_q8_0PKvliR15HIP_vector_typeIfLj2EEEEiEvS1_PKiPT2_llS2_IjLj3EEmmmmmmmmm.uses_vcc, 1
	.set _ZL10k_get_rowsILi32ELi1EXadL_ZL15dequantize_q8_0PKvliR15HIP_vector_typeIfLj2EEEEiEvS1_PKiPT2_llS2_IjLj3EEmmmmmmmmm.uses_flat_scratch, 0
	.set _ZL10k_get_rowsILi32ELi1EXadL_ZL15dequantize_q8_0PKvliR15HIP_vector_typeIfLj2EEEEiEvS1_PKiPT2_llS2_IjLj3EEmmmmmmmmm.has_dyn_sized_stack, 0
	.set _ZL10k_get_rowsILi32ELi1EXadL_ZL15dequantize_q8_0PKvliR15HIP_vector_typeIfLj2EEEEiEvS1_PKiPT2_llS2_IjLj3EEmmmmmmmmm.has_recursion, 0
	.set _ZL10k_get_rowsILi32ELi1EXadL_ZL15dequantize_q8_0PKvliR15HIP_vector_typeIfLj2EEEEiEvS1_PKiPT2_llS2_IjLj3EEmmmmmmmmm.has_indirect_call, 0
	.section	.AMDGPU.csdata,"",@progbits
; Kernel info:
; codeLenInByte = 804
; TotalNumSgprs: 54
; NumVgprs: 21
; ScratchSize: 0
; MemoryBound: 0
; FloatMode: 240
; IeeeMode: 1
; LDSByteSize: 0 bytes/workgroup (compile time only)
; SGPRBlocks: 6
; VGPRBlocks: 5
; NumSGPRsForWavesPerEU: 54
; NumVGPRsForWavesPerEU: 21
; Occupancy: 10
; WaveLimiterHint : 1
; COMPUTE_PGM_RSRC2:SCRATCH_EN: 0
; COMPUTE_PGM_RSRC2:USER_SGPR: 6
; COMPUTE_PGM_RSRC2:TRAP_HANDLER: 0
; COMPUTE_PGM_RSRC2:TGID_X_EN: 1
; COMPUTE_PGM_RSRC2:TGID_Y_EN: 1
; COMPUTE_PGM_RSRC2:TGID_Z_EN: 1
; COMPUTE_PGM_RSRC2:TIDIG_COMP_CNT: 0
	.section	.text._ZL16k_get_rows_floatI6__halfS0_EvPKT_PKiPT0_ll15HIP_vector_typeIjLj3EEmmmmmmmmm,"axG",@progbits,_ZL16k_get_rows_floatI6__halfS0_EvPKT_PKiPT0_ll15HIP_vector_typeIjLj3EEmmmmmmmmm,comdat
	.globl	_ZL16k_get_rows_floatI6__halfS0_EvPKT_PKiPT0_ll15HIP_vector_typeIjLj3EEmmmmmmmmm ; -- Begin function _ZL16k_get_rows_floatI6__halfS0_EvPKT_PKiPT0_ll15HIP_vector_typeIjLj3EEmmmmmmmmm
	.p2align	8
	.type	_ZL16k_get_rows_floatI6__halfS0_EvPKT_PKiPT0_ll15HIP_vector_typeIjLj3EEmmmmmmmmm,@function
_ZL16k_get_rows_floatI6__halfS0_EvPKT_PKiPT0_ll15HIP_vector_typeIjLj3EEmmmmmmmmm: ; @_ZL16k_get_rows_floatI6__halfS0_EvPKT_PKiPT0_ll15HIP_vector_typeIjLj3EEmmmmmmmmm
; %bb.0:
	s_load_dwordx2 s[0:1], s[4:5], 0x20
	s_load_dwordx2 s[2:3], s[4:5], 0x2c
	s_mov_b32 s9, 0
	v_mov_b32_e32 v1, s8
	v_mov_b32_e32 v2, s9
	s_waitcnt lgkmcnt(0)
	s_mul_i32 s1, s1, s3
	s_mul_hi_u32 s10, s0, s3
	s_add_i32 s31, s10, s1
	s_mul_i32 s30, s0, s3
	v_cmp_le_i64_e32 vcc, s[30:31], v[1:2]
	s_cbranch_vccnz .LBB20_6
; %bb.1:
	s_load_dwordx8 s[36:43], s[4:5], 0x0
	s_load_dwordx2 s[10:11], s[4:5], 0x78
	s_load_dwordx2 s[28:29], s[4:5], 0x88
	s_load_dword s33, s[4:5], 0x28
	s_load_dwordx16 s[12:27], s[4:5], 0x38
	s_add_u32 s4, s4, 0x80
	s_addc_u32 s5, s5, 0
	s_waitcnt lgkmcnt(0)
	s_and_b32 s29, s29, 0xffff
	s_mul_i32 s7, s7, s29
	v_add_u32_e32 v0, s7, v0
	s_ashr_i32 s7, s6, 31
	s_mul_hi_u32 s34, s24, s6
	s_mul_i32 s35, s24, s7
	s_add_i32 s34, s34, s35
	s_mul_i32 s25, s25, s6
	s_add_i32 s25, s34, s25
	s_mul_i32 s24, s24, s6
	s_lshl_b64 s[24:25], s[24:25], 2
	s_add_u32 s38, s38, s24
	s_mul_hi_u32 s24, s12, s6
	s_mul_i32 s7, s12, s7
	s_addc_u32 s39, s39, s25
	s_add_i32 s7, s24, s7
	s_mul_i32 s13, s13, s6
	s_add_i32 s7, s7, s13
	s_mul_i32 s6, s12, s6
	v_mov_b32_e32 v1, 0
	s_lshl_b64 s[6:7], s[6:7], 1
	v_lshlrev_b64 v[2:3], 1, v[0:1]
	s_add_u32 s6, s40, s6
	s_addc_u32 s7, s41, s7
	v_mov_b32_e32 v4, s7
	v_add_co_u32_e32 v6, vcc, s6, v2
	v_addc_co_u32_e32 v7, vcc, v4, v3, vcc
	v_mov_b32_e32 v4, s37
	v_add_co_u32_e32 v8, vcc, s36, v2
	v_cmp_gt_i64_e64 s[0:1], s[42:43], v[0:1]
	v_addc_co_u32_e32 v9, vcc, v4, v3, vcc
	v_mov_b32_e32 v2, s30
	s_lshl_b64 s[6:7], s[14:15], 1
	s_lshl_b64 s[12:13], s[16:17], 1
	v_mov_b32_e32 v3, s31
	s_mov_b64 s[14:15], s[8:9]
	s_branch .LBB20_3
.LBB20_2:                               ;   in Loop: Header=BB20_3 Depth=1
	s_or_b64 exec, exec, s[16:17]
	s_add_u32 s14, s14, s28
	s_addc_u32 s15, s15, 0
	v_cmp_lt_i64_e32 vcc, s[14:15], v[2:3]
	s_cbranch_vccz .LBB20_6
.LBB20_3:                               ; =>This Loop Header: Depth=1
                                        ;     Child Loop BB20_5 Depth 2
	s_and_saveexec_b64 s[16:17], s[0:1]
	s_cbranch_execz .LBB20_2
; %bb.4:                                ;   in Loop: Header=BB20_3 Depth=1
	s_mul_hi_u32 s8, s14, s33
	s_add_i32 s8, s8, s14
	s_lshr_b32 s34, s8, s2
	s_mul_i32 s8, s34, s3
	s_ashr_i32 s36, s34, 31
	s_sub_i32 s35, s14, s8
	s_mul_i32 s8, s26, s36
	s_mul_hi_u32 s24, s26, s34
	s_add_i32 s8, s24, s8
	s_mul_i32 s24, s27, s34
	s_ashr_i32 s37, s35, 31
	s_add_i32 s25, s8, s24
	s_mul_i32 s8, s10, s37
	s_mul_hi_u32 s30, s10, s35
	s_mul_i32 s24, s26, s34
	s_add_i32 s8, s30, s8
	s_mul_i32 s30, s11, s35
	s_add_i32 s31, s8, s30
	s_lshl_b64 s[24:25], s[24:25], 2
	s_mul_i32 s30, s10, s35
	s_add_u32 s8, s38, s24
	s_addc_u32 s40, s39, s25
	s_lshl_b64 s[24:25], s[30:31], 2
	s_load_dword s31, s[4:5], 0x4
	s_add_u32 s24, s8, s24
	s_mul_i32 s8, s20, s36
	s_mul_hi_u32 s30, s20, s34
	s_addc_u32 s25, s40, s25
	s_add_i32 s8, s30, s8
	s_mul_i32 s30, s21, s34
	s_add_i32 s40, s8, s30
	s_waitcnt lgkmcnt(0)
	s_mul_i32 s8, s31, s29
	s_mul_i32 s30, s6, s36
	s_mul_hi_u32 s31, s6, s34
	s_add_i32 s30, s31, s30
	s_mul_i32 s31, s7, s34
	s_mul_i32 s41, s20, s34
	s_add_i32 s30, s30, s31
	s_mul_i32 s31, s6, s34
	s_mul_i32 s34, s12, s37
	s_mul_hi_u32 s36, s12, s35
	s_add_i32 s34, s36, s34
	s_mul_i32 s36, s13, s35
	s_add_i32 s34, s34, s36
	s_mul_i32 s36, s12, s35
	s_add_u32 s31, s31, s36
	s_addc_u32 s30, s30, s34
	s_mul_i32 s34, s22, s37
	s_mul_hi_u32 s36, s22, s35
	s_add_i32 s34, s36, s34
	s_mul_i32 s36, s23, s35
	v_mov_b32_e32 v4, s30
	v_add_co_u32_e32 v10, vcc, s31, v6
	s_lshl_b64 s[30:31], s[8:9], 1
	s_add_i32 s34, s34, s36
	s_mul_i32 s35, s22, s35
	s_add_u32 s35, s41, s35
	v_addc_co_u32_e32 v11, vcc, v7, v4, vcc
	s_addc_u32 s34, s40, s34
	v_mov_b32_e32 v4, s34
	v_add_co_u32_e32 v12, vcc, s35, v8
	v_addc_co_u32_e32 v13, vcc, v9, v4, vcc
	v_mov_b32_e32 v5, v1
	s_mov_b64 s[34:35], 0
	s_mov_b64 s[36:37], 0
	v_mov_b32_e32 v4, v0
.LBB20_5:                               ;   Parent Loop BB20_3 Depth=1
                                        ; =>  This Inner Loop Header: Depth=2
	global_load_dword v14, v1, s[24:25]
	v_mov_b32_e32 v15, s37
	s_waitcnt vmcnt(0)
	v_ashrrev_i32_e32 v16, 31, v14
	v_mul_hi_u32 v17, s18, v14
	v_mul_lo_u32 v16, s18, v16
	v_mul_lo_u32 v18, s19, v14
	;; [unrolled: 1-line block ×3, first 2 shown]
	v_add_u32_e32 v16, v17, v16
	v_add_u32_e32 v16, v16, v18
	v_add_co_u32_e32 v14, vcc, s36, v14
	v_addc_co_u32_e32 v15, vcc, v15, v16, vcc
	v_add_co_u32_e32 v14, vcc, v12, v14
	v_addc_co_u32_e32 v15, vcc, v13, v15, vcc
	global_load_ushort v16, v[14:15], off
	v_add_co_u32_e32 v4, vcc, s8, v4
	v_addc_co_u32_e32 v5, vcc, 0, v5, vcc
	v_mov_b32_e32 v15, s37
	v_add_co_u32_e32 v14, vcc, s36, v10
	v_addc_co_u32_e32 v15, vcc, v11, v15, vcc
	v_cmp_le_i64_e32 vcc, s[42:43], v[4:5]
	s_add_u32 s36, s36, s30
	s_addc_u32 s37, s37, s31
	s_or_b64 s[34:35], vcc, s[34:35]
	s_waitcnt vmcnt(0)
	global_store_short v[14:15], v16, off
	s_andn2_b64 exec, exec, s[34:35]
	s_cbranch_execnz .LBB20_5
	s_branch .LBB20_2
.LBB20_6:
	s_endpgm
	.section	.rodata,"a",@progbits
	.p2align	6, 0x0
	.amdhsa_kernel _ZL16k_get_rows_floatI6__halfS0_EvPKT_PKiPT0_ll15HIP_vector_typeIjLj3EEmmmmmmmmm
		.amdhsa_group_segment_fixed_size 0
		.amdhsa_private_segment_fixed_size 0
		.amdhsa_kernarg_size 384
		.amdhsa_user_sgpr_count 6
		.amdhsa_user_sgpr_private_segment_buffer 1
		.amdhsa_user_sgpr_dispatch_ptr 0
		.amdhsa_user_sgpr_queue_ptr 0
		.amdhsa_user_sgpr_kernarg_segment_ptr 1
		.amdhsa_user_sgpr_dispatch_id 0
		.amdhsa_user_sgpr_flat_scratch_init 0
		.amdhsa_user_sgpr_private_segment_size 0
		.amdhsa_uses_dynamic_stack 0
		.amdhsa_system_sgpr_private_segment_wavefront_offset 0
		.amdhsa_system_sgpr_workgroup_id_x 1
		.amdhsa_system_sgpr_workgroup_id_y 1
		.amdhsa_system_sgpr_workgroup_id_z 1
		.amdhsa_system_sgpr_workgroup_info 0
		.amdhsa_system_vgpr_workitem_id 0
		.amdhsa_next_free_vgpr 19
		.amdhsa_next_free_sgpr 44
		.amdhsa_reserve_vcc 1
		.amdhsa_reserve_flat_scratch 0
		.amdhsa_float_round_mode_32 0
		.amdhsa_float_round_mode_16_64 0
		.amdhsa_float_denorm_mode_32 3
		.amdhsa_float_denorm_mode_16_64 3
		.amdhsa_dx10_clamp 1
		.amdhsa_ieee_mode 1
		.amdhsa_fp16_overflow 0
		.amdhsa_exception_fp_ieee_invalid_op 0
		.amdhsa_exception_fp_denorm_src 0
		.amdhsa_exception_fp_ieee_div_zero 0
		.amdhsa_exception_fp_ieee_overflow 0
		.amdhsa_exception_fp_ieee_underflow 0
		.amdhsa_exception_fp_ieee_inexact 0
		.amdhsa_exception_int_div_zero 0
	.end_amdhsa_kernel
	.section	.text._ZL16k_get_rows_floatI6__halfS0_EvPKT_PKiPT0_ll15HIP_vector_typeIjLj3EEmmmmmmmmm,"axG",@progbits,_ZL16k_get_rows_floatI6__halfS0_EvPKT_PKiPT0_ll15HIP_vector_typeIjLj3EEmmmmmmmmm,comdat
.Lfunc_end20:
	.size	_ZL16k_get_rows_floatI6__halfS0_EvPKT_PKiPT0_ll15HIP_vector_typeIjLj3EEmmmmmmmmm, .Lfunc_end20-_ZL16k_get_rows_floatI6__halfS0_EvPKT_PKiPT0_ll15HIP_vector_typeIjLj3EEmmmmmmmmm
                                        ; -- End function
	.set _ZL16k_get_rows_floatI6__halfS0_EvPKT_PKiPT0_ll15HIP_vector_typeIjLj3EEmmmmmmmmm.num_vgpr, 19
	.set _ZL16k_get_rows_floatI6__halfS0_EvPKT_PKiPT0_ll15HIP_vector_typeIjLj3EEmmmmmmmmm.num_agpr, 0
	.set _ZL16k_get_rows_floatI6__halfS0_EvPKT_PKiPT0_ll15HIP_vector_typeIjLj3EEmmmmmmmmm.numbered_sgpr, 44
	.set _ZL16k_get_rows_floatI6__halfS0_EvPKT_PKiPT0_ll15HIP_vector_typeIjLj3EEmmmmmmmmm.num_named_barrier, 0
	.set _ZL16k_get_rows_floatI6__halfS0_EvPKT_PKiPT0_ll15HIP_vector_typeIjLj3EEmmmmmmmmm.private_seg_size, 0
	.set _ZL16k_get_rows_floatI6__halfS0_EvPKT_PKiPT0_ll15HIP_vector_typeIjLj3EEmmmmmmmmm.uses_vcc, 1
	.set _ZL16k_get_rows_floatI6__halfS0_EvPKT_PKiPT0_ll15HIP_vector_typeIjLj3EEmmmmmmmmm.uses_flat_scratch, 0
	.set _ZL16k_get_rows_floatI6__halfS0_EvPKT_PKiPT0_ll15HIP_vector_typeIjLj3EEmmmmmmmmm.has_dyn_sized_stack, 0
	.set _ZL16k_get_rows_floatI6__halfS0_EvPKT_PKiPT0_ll15HIP_vector_typeIjLj3EEmmmmmmmmm.has_recursion, 0
	.set _ZL16k_get_rows_floatI6__halfS0_EvPKT_PKiPT0_ll15HIP_vector_typeIjLj3EEmmmmmmmmm.has_indirect_call, 0
	.section	.AMDGPU.csdata,"",@progbits
; Kernel info:
; codeLenInByte = 720
; TotalNumSgprs: 48
; NumVgprs: 19
; ScratchSize: 0
; MemoryBound: 0
; FloatMode: 240
; IeeeMode: 1
; LDSByteSize: 0 bytes/workgroup (compile time only)
; SGPRBlocks: 5
; VGPRBlocks: 4
; NumSGPRsForWavesPerEU: 48
; NumVGPRsForWavesPerEU: 19
; Occupancy: 10
; WaveLimiterHint : 1
; COMPUTE_PGM_RSRC2:SCRATCH_EN: 0
; COMPUTE_PGM_RSRC2:USER_SGPR: 6
; COMPUTE_PGM_RSRC2:TRAP_HANDLER: 0
; COMPUTE_PGM_RSRC2:TGID_X_EN: 1
; COMPUTE_PGM_RSRC2:TGID_Y_EN: 1
; COMPUTE_PGM_RSRC2:TGID_Z_EN: 1
; COMPUTE_PGM_RSRC2:TIDIG_COMP_CNT: 0
	.section	.text._ZL16k_get_rows_floatIf6__halfEvPKT_PKiPT0_ll15HIP_vector_typeIjLj3EEmmmmmmmmm,"axG",@progbits,_ZL16k_get_rows_floatIf6__halfEvPKT_PKiPT0_ll15HIP_vector_typeIjLj3EEmmmmmmmmm,comdat
	.globl	_ZL16k_get_rows_floatIf6__halfEvPKT_PKiPT0_ll15HIP_vector_typeIjLj3EEmmmmmmmmm ; -- Begin function _ZL16k_get_rows_floatIf6__halfEvPKT_PKiPT0_ll15HIP_vector_typeIjLj3EEmmmmmmmmm
	.p2align	8
	.type	_ZL16k_get_rows_floatIf6__halfEvPKT_PKiPT0_ll15HIP_vector_typeIjLj3EEmmmmmmmmm,@function
_ZL16k_get_rows_floatIf6__halfEvPKT_PKiPT0_ll15HIP_vector_typeIjLj3EEmmmmmmmmm: ; @_ZL16k_get_rows_floatIf6__halfEvPKT_PKiPT0_ll15HIP_vector_typeIjLj3EEmmmmmmmmm
; %bb.0:
	s_load_dwordx2 s[0:1], s[4:5], 0x20
	s_load_dwordx2 s[2:3], s[4:5], 0x2c
	s_mov_b32 s9, 0
	v_mov_b32_e32 v1, s8
	v_mov_b32_e32 v2, s9
	s_waitcnt lgkmcnt(0)
	s_mul_i32 s1, s1, s3
	s_mul_hi_u32 s10, s0, s3
	s_add_i32 s11, s10, s1
	s_mul_i32 s10, s0, s3
	v_cmp_le_i64_e32 vcc, s[10:11], v[1:2]
	s_cbranch_vccnz .LBB21_6
; %bb.1:
	s_load_dwordx8 s[36:43], s[4:5], 0x0
	s_load_dwordx2 s[28:29], s[4:5], 0x78
	s_load_dwordx2 s[30:31], s[4:5], 0x88
	s_load_dword s33, s[4:5], 0x28
	s_load_dwordx16 s[12:27], s[4:5], 0x38
	s_add_u32 s4, s4, 0x80
	s_addc_u32 s5, s5, 0
	s_waitcnt lgkmcnt(0)
	s_and_b32 s31, s31, 0xffff
	s_mul_i32 s7, s7, s31
	v_add_u32_e32 v0, s7, v0
	s_ashr_i32 s7, s6, 31
	s_mul_hi_u32 s34, s24, s6
	s_mul_i32 s35, s24, s7
	s_add_i32 s34, s34, s35
	s_mul_i32 s25, s25, s6
	s_add_i32 s25, s34, s25
	s_mul_i32 s24, s24, s6
	s_lshl_b64 s[24:25], s[24:25], 2
	s_add_u32 s44, s38, s24
	s_mul_hi_u32 s24, s12, s6
	s_mul_i32 s7, s12, s7
	s_addc_u32 s45, s39, s25
	s_add_i32 s7, s24, s7
	s_mul_i32 s13, s13, s6
	s_add_i32 s7, s7, s13
	s_mul_i32 s6, s12, s6
	v_mov_b32_e32 v1, 0
	s_lshl_b64 s[6:7], s[6:7], 1
	v_lshlrev_b64 v[2:3], 1, v[0:1]
	s_add_u32 s6, s40, s6
	s_addc_u32 s7, s41, s7
	v_mov_b32_e32 v4, s7
	v_add_co_u32_e32 v8, vcc, s6, v2
	v_addc_co_u32_e32 v9, vcc, v4, v3, vcc
	v_lshlrev_b64 v[2:3], 2, v[0:1]
	v_cmp_gt_i64_e64 s[0:1], s[42:43], v[0:1]
	v_mov_b32_e32 v4, s37
	v_add_co_u32_e32 v10, vcc, s36, v2
	s_lshl_b64 s[6:7], s[14:15], 1
	s_lshl_b64 s[12:13], s[16:17], 1
	v_addc_co_u32_e32 v11, vcc, v4, v3, vcc
	s_mov_b64 s[14:15], s[8:9]
	s_branch .LBB21_3
.LBB21_2:                               ;   in Loop: Header=BB21_3 Depth=1
	s_or_b64 exec, exec, s[16:17]
	s_add_u32 s14, s14, s30
	v_mov_b32_e32 v2, s10
	s_addc_u32 s15, s15, 0
	v_mov_b32_e32 v3, s11
	v_cmp_lt_i64_e32 vcc, s[14:15], v[2:3]
	s_cbranch_vccz .LBB21_6
.LBB21_3:                               ; =>This Loop Header: Depth=1
                                        ;     Child Loop BB21_5 Depth 2
	s_and_saveexec_b64 s[16:17], s[0:1]
	s_cbranch_execz .LBB21_2
; %bb.4:                                ;   in Loop: Header=BB21_3 Depth=1
	s_mul_hi_u32 s8, s14, s33
	s_add_i32 s8, s8, s14
	s_lshr_b32 s36, s8, s2
	s_mul_i32 s8, s36, s3
	s_ashr_i32 s38, s36, 31
	s_sub_i32 s37, s14, s8
	s_mul_i32 s8, s26, s38
	s_mul_hi_u32 s24, s26, s36
	s_add_i32 s8, s24, s8
	s_mul_i32 s24, s27, s36
	s_ashr_i32 s39, s37, 31
	s_add_i32 s25, s8, s24
	s_mul_i32 s8, s28, s39
	s_mul_hi_u32 s34, s28, s37
	s_mul_i32 s24, s26, s36
	s_add_i32 s8, s34, s8
	s_mul_i32 s34, s29, s37
	s_add_i32 s35, s8, s34
	s_lshl_b64 s[24:25], s[24:25], 2
	s_mul_i32 s34, s28, s37
	s_add_u32 s8, s44, s24
	s_addc_u32 s40, s45, s25
	s_lshl_b64 s[24:25], s[34:35], 2
	s_load_dword s35, s[4:5], 0x4
	s_add_u32 s24, s8, s24
	s_mul_i32 s8, s20, s38
	s_mul_hi_u32 s34, s20, s36
	s_addc_u32 s25, s40, s25
	s_add_i32 s8, s34, s8
	s_mul_i32 s34, s21, s36
	s_add_i32 s40, s8, s34
	s_waitcnt lgkmcnt(0)
	s_mul_i32 s8, s35, s31
	s_mul_i32 s34, s6, s38
	s_mul_hi_u32 s35, s6, s36
	s_add_i32 s34, s35, s34
	s_mul_i32 s35, s7, s36
	s_mul_i32 s41, s20, s36
	s_add_i32 s34, s34, s35
	s_mul_i32 s35, s6, s36
	s_mul_i32 s36, s12, s39
	s_mul_hi_u32 s38, s12, s37
	s_add_i32 s36, s38, s36
	s_mul_i32 s38, s13, s37
	s_add_i32 s36, s36, s38
	s_mul_i32 s38, s12, s37
	s_add_u32 s35, s35, s38
	s_addc_u32 s34, s34, s36
	s_mul_i32 s36, s22, s39
	s_mul_hi_u32 s38, s22, s37
	s_add_i32 s36, s38, s36
	s_mul_i32 s38, s23, s37
	v_mov_b32_e32 v3, s34
	v_add_co_u32_e32 v2, vcc, s35, v8
	s_lshl_b64 s[34:35], s[8:9], 1
	s_add_i32 s36, s36, s38
	s_mul_i32 s37, s22, s37
	s_add_u32 s37, s41, s37
	v_addc_co_u32_e32 v3, vcc, v9, v3, vcc
	s_addc_u32 s36, s40, s36
	v_mov_b32_e32 v5, s36
	v_add_co_u32_e32 v4, vcc, s37, v10
	s_lshl_b64 s[36:37], s[8:9], 2
	v_mov_b32_e32 v7, v1
	v_addc_co_u32_e32 v5, vcc, v11, v5, vcc
	s_mov_b64 s[38:39], 0
	v_mov_b32_e32 v12, s35
	v_mov_b32_e32 v13, s37
	v_mov_b32_e32 v6, v0
.LBB21_5:                               ;   Parent Loop BB21_3 Depth=1
                                        ; =>  This Inner Loop Header: Depth=2
	global_load_dword v14, v1, s[24:25]
	v_add_co_u32_e32 v6, vcc, s8, v6
	v_addc_co_u32_e32 v7, vcc, 0, v7, vcc
	v_cmp_le_i64_e32 vcc, s[42:43], v[6:7]
	s_or_b64 s[38:39], vcc, s[38:39]
	s_waitcnt vmcnt(0)
	v_ashrrev_i32_e32 v16, 31, v14
	v_mul_lo_u32 v17, s19, v14
	v_mul_lo_u32 v16, s18, v16
	v_mad_u64_u32 v[14:15], s[40:41], s18, v14, v[4:5]
	v_add_co_u32_e32 v4, vcc, s36, v4
	v_add_u32_e32 v16, v16, v17
	v_add_u32_e32 v15, v16, v15
	global_load_dword v14, v[14:15], off
	v_addc_co_u32_e32 v5, vcc, v5, v13, vcc
	s_waitcnt vmcnt(0)
	v_cvt_f16_f32_e32 v14, v14
	global_store_short v[2:3], v14, off
	v_add_co_u32_e32 v2, vcc, s34, v2
	v_addc_co_u32_e32 v3, vcc, v3, v12, vcc
	s_andn2_b64 exec, exec, s[38:39]
	s_cbranch_execnz .LBB21_5
	s_branch .LBB21_2
.LBB21_6:
	s_endpgm
	.section	.rodata,"a",@progbits
	.p2align	6, 0x0
	.amdhsa_kernel _ZL16k_get_rows_floatIf6__halfEvPKT_PKiPT0_ll15HIP_vector_typeIjLj3EEmmmmmmmmm
		.amdhsa_group_segment_fixed_size 0
		.amdhsa_private_segment_fixed_size 0
		.amdhsa_kernarg_size 384
		.amdhsa_user_sgpr_count 6
		.amdhsa_user_sgpr_private_segment_buffer 1
		.amdhsa_user_sgpr_dispatch_ptr 0
		.amdhsa_user_sgpr_queue_ptr 0
		.amdhsa_user_sgpr_kernarg_segment_ptr 1
		.amdhsa_user_sgpr_dispatch_id 0
		.amdhsa_user_sgpr_flat_scratch_init 0
		.amdhsa_user_sgpr_private_segment_size 0
		.amdhsa_uses_dynamic_stack 0
		.amdhsa_system_sgpr_private_segment_wavefront_offset 0
		.amdhsa_system_sgpr_workgroup_id_x 1
		.amdhsa_system_sgpr_workgroup_id_y 1
		.amdhsa_system_sgpr_workgroup_id_z 1
		.amdhsa_system_sgpr_workgroup_info 0
		.amdhsa_system_vgpr_workitem_id 0
		.amdhsa_next_free_vgpr 18
		.amdhsa_next_free_sgpr 46
		.amdhsa_reserve_vcc 1
		.amdhsa_reserve_flat_scratch 0
		.amdhsa_float_round_mode_32 0
		.amdhsa_float_round_mode_16_64 0
		.amdhsa_float_denorm_mode_32 3
		.amdhsa_float_denorm_mode_16_64 3
		.amdhsa_dx10_clamp 1
		.amdhsa_ieee_mode 1
		.amdhsa_fp16_overflow 0
		.amdhsa_exception_fp_ieee_invalid_op 0
		.amdhsa_exception_fp_denorm_src 0
		.amdhsa_exception_fp_ieee_div_zero 0
		.amdhsa_exception_fp_ieee_overflow 0
		.amdhsa_exception_fp_ieee_underflow 0
		.amdhsa_exception_fp_ieee_inexact 0
		.amdhsa_exception_int_div_zero 0
	.end_amdhsa_kernel
	.section	.text._ZL16k_get_rows_floatIf6__halfEvPKT_PKiPT0_ll15HIP_vector_typeIjLj3EEmmmmmmmmm,"axG",@progbits,_ZL16k_get_rows_floatIf6__halfEvPKT_PKiPT0_ll15HIP_vector_typeIjLj3EEmmmmmmmmm,comdat
.Lfunc_end21:
	.size	_ZL16k_get_rows_floatIf6__halfEvPKT_PKiPT0_ll15HIP_vector_typeIjLj3EEmmmmmmmmm, .Lfunc_end21-_ZL16k_get_rows_floatIf6__halfEvPKT_PKiPT0_ll15HIP_vector_typeIjLj3EEmmmmmmmmm
                                        ; -- End function
	.set _ZL16k_get_rows_floatIf6__halfEvPKT_PKiPT0_ll15HIP_vector_typeIjLj3EEmmmmmmmmm.num_vgpr, 18
	.set _ZL16k_get_rows_floatIf6__halfEvPKT_PKiPT0_ll15HIP_vector_typeIjLj3EEmmmmmmmmm.num_agpr, 0
	.set _ZL16k_get_rows_floatIf6__halfEvPKT_PKiPT0_ll15HIP_vector_typeIjLj3EEmmmmmmmmm.numbered_sgpr, 46
	.set _ZL16k_get_rows_floatIf6__halfEvPKT_PKiPT0_ll15HIP_vector_typeIjLj3EEmmmmmmmmm.num_named_barrier, 0
	.set _ZL16k_get_rows_floatIf6__halfEvPKT_PKiPT0_ll15HIP_vector_typeIjLj3EEmmmmmmmmm.private_seg_size, 0
	.set _ZL16k_get_rows_floatIf6__halfEvPKT_PKiPT0_ll15HIP_vector_typeIjLj3EEmmmmmmmmm.uses_vcc, 1
	.set _ZL16k_get_rows_floatIf6__halfEvPKT_PKiPT0_ll15HIP_vector_typeIjLj3EEmmmmmmmmm.uses_flat_scratch, 0
	.set _ZL16k_get_rows_floatIf6__halfEvPKT_PKiPT0_ll15HIP_vector_typeIjLj3EEmmmmmmmmm.has_dyn_sized_stack, 0
	.set _ZL16k_get_rows_floatIf6__halfEvPKT_PKiPT0_ll15HIP_vector_typeIjLj3EEmmmmmmmmm.has_recursion, 0
	.set _ZL16k_get_rows_floatIf6__halfEvPKT_PKiPT0_ll15HIP_vector_typeIjLj3EEmmmmmmmmm.has_indirect_call, 0
	.section	.AMDGPU.csdata,"",@progbits
; Kernel info:
; codeLenInByte = 708
; TotalNumSgprs: 50
; NumVgprs: 18
; ScratchSize: 0
; MemoryBound: 0
; FloatMode: 240
; IeeeMode: 1
; LDSByteSize: 0 bytes/workgroup (compile time only)
; SGPRBlocks: 6
; VGPRBlocks: 4
; NumSGPRsForWavesPerEU: 50
; NumVGPRsForWavesPerEU: 18
; Occupancy: 10
; WaveLimiterHint : 1
; COMPUTE_PGM_RSRC2:SCRATCH_EN: 0
; COMPUTE_PGM_RSRC2:USER_SGPR: 6
; COMPUTE_PGM_RSRC2:TRAP_HANDLER: 0
; COMPUTE_PGM_RSRC2:TGID_X_EN: 1
; COMPUTE_PGM_RSRC2:TGID_Y_EN: 1
; COMPUTE_PGM_RSRC2:TGID_Z_EN: 1
; COMPUTE_PGM_RSRC2:TIDIG_COMP_CNT: 0
	.section	.text._ZL16k_get_rows_floatIi6__halfEvPKT_PKiPT0_ll15HIP_vector_typeIjLj3EEmmmmmmmmm,"axG",@progbits,_ZL16k_get_rows_floatIi6__halfEvPKT_PKiPT0_ll15HIP_vector_typeIjLj3EEmmmmmmmmm,comdat
	.globl	_ZL16k_get_rows_floatIi6__halfEvPKT_PKiPT0_ll15HIP_vector_typeIjLj3EEmmmmmmmmm ; -- Begin function _ZL16k_get_rows_floatIi6__halfEvPKT_PKiPT0_ll15HIP_vector_typeIjLj3EEmmmmmmmmm
	.p2align	8
	.type	_ZL16k_get_rows_floatIi6__halfEvPKT_PKiPT0_ll15HIP_vector_typeIjLj3EEmmmmmmmmm,@function
_ZL16k_get_rows_floatIi6__halfEvPKT_PKiPT0_ll15HIP_vector_typeIjLj3EEmmmmmmmmm: ; @_ZL16k_get_rows_floatIi6__halfEvPKT_PKiPT0_ll15HIP_vector_typeIjLj3EEmmmmmmmmm
; %bb.0:
	s_load_dwordx2 s[0:1], s[4:5], 0x20
	s_load_dwordx2 s[2:3], s[4:5], 0x2c
	s_mov_b32 s9, 0
	v_mov_b32_e32 v1, s8
	v_mov_b32_e32 v2, s9
	s_waitcnt lgkmcnt(0)
	s_mul_i32 s1, s1, s3
	s_mul_hi_u32 s10, s0, s3
	s_add_i32 s11, s10, s1
	s_mul_i32 s10, s0, s3
	v_cmp_le_i64_e32 vcc, s[10:11], v[1:2]
	s_cbranch_vccnz .LBB22_6
; %bb.1:
	s_load_dwordx8 s[36:43], s[4:5], 0x0
	s_load_dwordx2 s[28:29], s[4:5], 0x78
	s_load_dwordx2 s[30:31], s[4:5], 0x88
	s_load_dword s33, s[4:5], 0x28
	s_load_dwordx16 s[12:27], s[4:5], 0x38
	s_add_u32 s4, s4, 0x80
	s_addc_u32 s5, s5, 0
	s_waitcnt lgkmcnt(0)
	s_and_b32 s31, s31, 0xffff
	s_mul_i32 s7, s7, s31
	v_add_u32_e32 v0, s7, v0
	s_ashr_i32 s7, s6, 31
	s_mul_hi_u32 s34, s24, s6
	s_mul_i32 s35, s24, s7
	s_add_i32 s34, s34, s35
	s_mul_i32 s25, s25, s6
	s_add_i32 s25, s34, s25
	s_mul_i32 s24, s24, s6
	s_lshl_b64 s[24:25], s[24:25], 2
	s_add_u32 s44, s38, s24
	s_mul_hi_u32 s24, s12, s6
	s_mul_i32 s7, s12, s7
	s_addc_u32 s45, s39, s25
	s_add_i32 s7, s24, s7
	s_mul_i32 s13, s13, s6
	s_add_i32 s7, s7, s13
	s_mul_i32 s6, s12, s6
	v_mov_b32_e32 v1, 0
	s_lshl_b64 s[6:7], s[6:7], 1
	v_lshlrev_b64 v[2:3], 1, v[0:1]
	s_add_u32 s6, s40, s6
	s_addc_u32 s7, s41, s7
	v_mov_b32_e32 v4, s7
	v_add_co_u32_e32 v8, vcc, s6, v2
	v_addc_co_u32_e32 v9, vcc, v4, v3, vcc
	v_lshlrev_b64 v[2:3], 2, v[0:1]
	v_cmp_gt_i64_e64 s[0:1], s[42:43], v[0:1]
	v_mov_b32_e32 v4, s37
	v_add_co_u32_e32 v10, vcc, s36, v2
	s_lshl_b64 s[6:7], s[14:15], 1
	s_lshl_b64 s[12:13], s[16:17], 1
	v_addc_co_u32_e32 v11, vcc, v4, v3, vcc
	s_mov_b64 s[14:15], s[8:9]
	s_branch .LBB22_3
.LBB22_2:                               ;   in Loop: Header=BB22_3 Depth=1
	s_or_b64 exec, exec, s[16:17]
	s_add_u32 s14, s14, s30
	v_mov_b32_e32 v2, s10
	s_addc_u32 s15, s15, 0
	v_mov_b32_e32 v3, s11
	v_cmp_lt_i64_e32 vcc, s[14:15], v[2:3]
	s_cbranch_vccz .LBB22_6
.LBB22_3:                               ; =>This Loop Header: Depth=1
                                        ;     Child Loop BB22_5 Depth 2
	s_and_saveexec_b64 s[16:17], s[0:1]
	s_cbranch_execz .LBB22_2
; %bb.4:                                ;   in Loop: Header=BB22_3 Depth=1
	s_mul_hi_u32 s8, s14, s33
	s_add_i32 s8, s8, s14
	s_lshr_b32 s36, s8, s2
	s_mul_i32 s8, s36, s3
	s_ashr_i32 s38, s36, 31
	s_sub_i32 s37, s14, s8
	s_mul_i32 s8, s26, s38
	s_mul_hi_u32 s24, s26, s36
	s_add_i32 s8, s24, s8
	s_mul_i32 s24, s27, s36
	s_ashr_i32 s39, s37, 31
	s_add_i32 s25, s8, s24
	s_mul_i32 s8, s28, s39
	s_mul_hi_u32 s34, s28, s37
	s_mul_i32 s24, s26, s36
	s_add_i32 s8, s34, s8
	s_mul_i32 s34, s29, s37
	s_add_i32 s35, s8, s34
	s_lshl_b64 s[24:25], s[24:25], 2
	s_mul_i32 s34, s28, s37
	s_add_u32 s8, s44, s24
	s_addc_u32 s40, s45, s25
	s_lshl_b64 s[24:25], s[34:35], 2
	s_load_dword s35, s[4:5], 0x4
	s_add_u32 s24, s8, s24
	s_mul_i32 s8, s20, s38
	s_mul_hi_u32 s34, s20, s36
	s_addc_u32 s25, s40, s25
	s_add_i32 s8, s34, s8
	s_mul_i32 s34, s21, s36
	s_add_i32 s40, s8, s34
	s_waitcnt lgkmcnt(0)
	s_mul_i32 s8, s35, s31
	s_mul_i32 s34, s6, s38
	s_mul_hi_u32 s35, s6, s36
	s_add_i32 s34, s35, s34
	s_mul_i32 s35, s7, s36
	s_mul_i32 s41, s20, s36
	s_add_i32 s34, s34, s35
	s_mul_i32 s35, s6, s36
	s_mul_i32 s36, s12, s39
	s_mul_hi_u32 s38, s12, s37
	s_add_i32 s36, s38, s36
	s_mul_i32 s38, s13, s37
	s_add_i32 s36, s36, s38
	s_mul_i32 s38, s12, s37
	s_add_u32 s35, s35, s38
	s_addc_u32 s34, s34, s36
	s_mul_i32 s36, s22, s39
	s_mul_hi_u32 s38, s22, s37
	s_add_i32 s36, s38, s36
	s_mul_i32 s38, s23, s37
	v_mov_b32_e32 v3, s34
	v_add_co_u32_e32 v2, vcc, s35, v8
	s_lshl_b64 s[34:35], s[8:9], 1
	s_add_i32 s36, s36, s38
	s_mul_i32 s37, s22, s37
	s_add_u32 s37, s41, s37
	v_addc_co_u32_e32 v3, vcc, v9, v3, vcc
	s_addc_u32 s36, s40, s36
	v_mov_b32_e32 v5, s36
	v_add_co_u32_e32 v4, vcc, s37, v10
	s_lshl_b64 s[36:37], s[8:9], 2
	v_mov_b32_e32 v7, v1
	v_addc_co_u32_e32 v5, vcc, v11, v5, vcc
	s_mov_b64 s[38:39], 0
	v_mov_b32_e32 v12, s35
	v_mov_b32_e32 v13, s37
	;; [unrolled: 1-line block ×3, first 2 shown]
.LBB22_5:                               ;   Parent Loop BB22_3 Depth=1
                                        ; =>  This Inner Loop Header: Depth=2
	global_load_dword v14, v1, s[24:25]
	v_add_co_u32_e32 v6, vcc, s8, v6
	v_addc_co_u32_e32 v7, vcc, 0, v7, vcc
	v_cmp_le_i64_e32 vcc, s[42:43], v[6:7]
	s_or_b64 s[38:39], vcc, s[38:39]
	s_waitcnt vmcnt(0)
	v_ashrrev_i32_e32 v16, 31, v14
	v_mul_lo_u32 v17, s19, v14
	v_mul_lo_u32 v16, s18, v16
	v_mad_u64_u32 v[14:15], s[40:41], s18, v14, v[4:5]
	v_add_co_u32_e32 v4, vcc, s36, v4
	v_add_u32_e32 v16, v16, v17
	v_add_u32_e32 v15, v16, v15
	global_load_dword v14, v[14:15], off
	v_addc_co_u32_e32 v5, vcc, v5, v13, vcc
	s_waitcnt vmcnt(0)
	v_cvt_f32_i32_e32 v14, v14
	v_cvt_f16_f32_e32 v14, v14
	global_store_short v[2:3], v14, off
	v_add_co_u32_e32 v2, vcc, s34, v2
	v_addc_co_u32_e32 v3, vcc, v3, v12, vcc
	s_andn2_b64 exec, exec, s[38:39]
	s_cbranch_execnz .LBB22_5
	s_branch .LBB22_2
.LBB22_6:
	s_endpgm
	.section	.rodata,"a",@progbits
	.p2align	6, 0x0
	.amdhsa_kernel _ZL16k_get_rows_floatIi6__halfEvPKT_PKiPT0_ll15HIP_vector_typeIjLj3EEmmmmmmmmm
		.amdhsa_group_segment_fixed_size 0
		.amdhsa_private_segment_fixed_size 0
		.amdhsa_kernarg_size 384
		.amdhsa_user_sgpr_count 6
		.amdhsa_user_sgpr_private_segment_buffer 1
		.amdhsa_user_sgpr_dispatch_ptr 0
		.amdhsa_user_sgpr_queue_ptr 0
		.amdhsa_user_sgpr_kernarg_segment_ptr 1
		.amdhsa_user_sgpr_dispatch_id 0
		.amdhsa_user_sgpr_flat_scratch_init 0
		.amdhsa_user_sgpr_private_segment_size 0
		.amdhsa_uses_dynamic_stack 0
		.amdhsa_system_sgpr_private_segment_wavefront_offset 0
		.amdhsa_system_sgpr_workgroup_id_x 1
		.amdhsa_system_sgpr_workgroup_id_y 1
		.amdhsa_system_sgpr_workgroup_id_z 1
		.amdhsa_system_sgpr_workgroup_info 0
		.amdhsa_system_vgpr_workitem_id 0
		.amdhsa_next_free_vgpr 18
		.amdhsa_next_free_sgpr 46
		.amdhsa_reserve_vcc 1
		.amdhsa_reserve_flat_scratch 0
		.amdhsa_float_round_mode_32 0
		.amdhsa_float_round_mode_16_64 0
		.amdhsa_float_denorm_mode_32 3
		.amdhsa_float_denorm_mode_16_64 3
		.amdhsa_dx10_clamp 1
		.amdhsa_ieee_mode 1
		.amdhsa_fp16_overflow 0
		.amdhsa_exception_fp_ieee_invalid_op 0
		.amdhsa_exception_fp_denorm_src 0
		.amdhsa_exception_fp_ieee_div_zero 0
		.amdhsa_exception_fp_ieee_overflow 0
		.amdhsa_exception_fp_ieee_underflow 0
		.amdhsa_exception_fp_ieee_inexact 0
		.amdhsa_exception_int_div_zero 0
	.end_amdhsa_kernel
	.section	.text._ZL16k_get_rows_floatIi6__halfEvPKT_PKiPT0_ll15HIP_vector_typeIjLj3EEmmmmmmmmm,"axG",@progbits,_ZL16k_get_rows_floatIi6__halfEvPKT_PKiPT0_ll15HIP_vector_typeIjLj3EEmmmmmmmmm,comdat
.Lfunc_end22:
	.size	_ZL16k_get_rows_floatIi6__halfEvPKT_PKiPT0_ll15HIP_vector_typeIjLj3EEmmmmmmmmm, .Lfunc_end22-_ZL16k_get_rows_floatIi6__halfEvPKT_PKiPT0_ll15HIP_vector_typeIjLj3EEmmmmmmmmm
                                        ; -- End function
	.set _ZL16k_get_rows_floatIi6__halfEvPKT_PKiPT0_ll15HIP_vector_typeIjLj3EEmmmmmmmmm.num_vgpr, 18
	.set _ZL16k_get_rows_floatIi6__halfEvPKT_PKiPT0_ll15HIP_vector_typeIjLj3EEmmmmmmmmm.num_agpr, 0
	.set _ZL16k_get_rows_floatIi6__halfEvPKT_PKiPT0_ll15HIP_vector_typeIjLj3EEmmmmmmmmm.numbered_sgpr, 46
	.set _ZL16k_get_rows_floatIi6__halfEvPKT_PKiPT0_ll15HIP_vector_typeIjLj3EEmmmmmmmmm.num_named_barrier, 0
	.set _ZL16k_get_rows_floatIi6__halfEvPKT_PKiPT0_ll15HIP_vector_typeIjLj3EEmmmmmmmmm.private_seg_size, 0
	.set _ZL16k_get_rows_floatIi6__halfEvPKT_PKiPT0_ll15HIP_vector_typeIjLj3EEmmmmmmmmm.uses_vcc, 1
	.set _ZL16k_get_rows_floatIi6__halfEvPKT_PKiPT0_ll15HIP_vector_typeIjLj3EEmmmmmmmmm.uses_flat_scratch, 0
	.set _ZL16k_get_rows_floatIi6__halfEvPKT_PKiPT0_ll15HIP_vector_typeIjLj3EEmmmmmmmmm.has_dyn_sized_stack, 0
	.set _ZL16k_get_rows_floatIi6__halfEvPKT_PKiPT0_ll15HIP_vector_typeIjLj3EEmmmmmmmmm.has_recursion, 0
	.set _ZL16k_get_rows_floatIi6__halfEvPKT_PKiPT0_ll15HIP_vector_typeIjLj3EEmmmmmmmmm.has_indirect_call, 0
	.section	.AMDGPU.csdata,"",@progbits
; Kernel info:
; codeLenInByte = 712
; TotalNumSgprs: 50
; NumVgprs: 18
; ScratchSize: 0
; MemoryBound: 0
; FloatMode: 240
; IeeeMode: 1
; LDSByteSize: 0 bytes/workgroup (compile time only)
; SGPRBlocks: 6
; VGPRBlocks: 4
; NumSGPRsForWavesPerEU: 50
; NumVGPRsForWavesPerEU: 18
; Occupancy: 10
; WaveLimiterHint : 1
; COMPUTE_PGM_RSRC2:SCRATCH_EN: 0
; COMPUTE_PGM_RSRC2:USER_SGPR: 6
; COMPUTE_PGM_RSRC2:TRAP_HANDLER: 0
; COMPUTE_PGM_RSRC2:TGID_X_EN: 1
; COMPUTE_PGM_RSRC2:TGID_Y_EN: 1
; COMPUTE_PGM_RSRC2:TGID_Z_EN: 1
; COMPUTE_PGM_RSRC2:TIDIG_COMP_CNT: 0
	.section	.text._ZL16k_get_rows_floatI14__hip_bfloat166__halfEvPKT_PKiPT0_ll15HIP_vector_typeIjLj3EEmmmmmmmmm,"axG",@progbits,_ZL16k_get_rows_floatI14__hip_bfloat166__halfEvPKT_PKiPT0_ll15HIP_vector_typeIjLj3EEmmmmmmmmm,comdat
	.globl	_ZL16k_get_rows_floatI14__hip_bfloat166__halfEvPKT_PKiPT0_ll15HIP_vector_typeIjLj3EEmmmmmmmmm ; -- Begin function _ZL16k_get_rows_floatI14__hip_bfloat166__halfEvPKT_PKiPT0_ll15HIP_vector_typeIjLj3EEmmmmmmmmm
	.p2align	8
	.type	_ZL16k_get_rows_floatI14__hip_bfloat166__halfEvPKT_PKiPT0_ll15HIP_vector_typeIjLj3EEmmmmmmmmm,@function
_ZL16k_get_rows_floatI14__hip_bfloat166__halfEvPKT_PKiPT0_ll15HIP_vector_typeIjLj3EEmmmmmmmmm: ; @_ZL16k_get_rows_floatI14__hip_bfloat166__halfEvPKT_PKiPT0_ll15HIP_vector_typeIjLj3EEmmmmmmmmm
; %bb.0:
	s_load_dwordx2 s[0:1], s[4:5], 0x20
	s_load_dwordx2 s[2:3], s[4:5], 0x2c
	s_mov_b32 s9, 0
	v_mov_b32_e32 v1, s8
	v_mov_b32_e32 v2, s9
	s_waitcnt lgkmcnt(0)
	s_mul_i32 s1, s1, s3
	s_mul_hi_u32 s10, s0, s3
	s_add_i32 s31, s10, s1
	s_mul_i32 s30, s0, s3
	v_cmp_le_i64_e32 vcc, s[30:31], v[1:2]
	s_cbranch_vccnz .LBB23_6
; %bb.1:
	s_load_dwordx8 s[36:43], s[4:5], 0x0
	s_load_dwordx2 s[10:11], s[4:5], 0x78
	s_load_dwordx2 s[28:29], s[4:5], 0x88
	s_load_dword s33, s[4:5], 0x28
	s_load_dwordx16 s[12:27], s[4:5], 0x38
	s_add_u32 s4, s4, 0x80
	s_addc_u32 s5, s5, 0
	s_waitcnt lgkmcnt(0)
	s_and_b32 s29, s29, 0xffff
	s_mul_i32 s7, s7, s29
	v_add_u32_e32 v0, s7, v0
	s_ashr_i32 s7, s6, 31
	s_mul_hi_u32 s34, s24, s6
	s_mul_i32 s35, s24, s7
	s_add_i32 s34, s34, s35
	s_mul_i32 s25, s25, s6
	s_add_i32 s25, s34, s25
	s_mul_i32 s24, s24, s6
	s_lshl_b64 s[24:25], s[24:25], 2
	s_add_u32 s38, s38, s24
	s_mul_hi_u32 s24, s12, s6
	s_mul_i32 s7, s12, s7
	s_addc_u32 s39, s39, s25
	s_add_i32 s7, s24, s7
	s_mul_i32 s13, s13, s6
	s_add_i32 s7, s7, s13
	s_mul_i32 s6, s12, s6
	v_mov_b32_e32 v1, 0
	s_lshl_b64 s[6:7], s[6:7], 1
	v_lshlrev_b64 v[2:3], 1, v[0:1]
	s_add_u32 s6, s40, s6
	s_addc_u32 s7, s41, s7
	v_mov_b32_e32 v4, s7
	v_add_co_u32_e32 v6, vcc, s6, v2
	v_addc_co_u32_e32 v7, vcc, v4, v3, vcc
	v_mov_b32_e32 v4, s37
	v_add_co_u32_e32 v8, vcc, s36, v2
	v_cmp_gt_i64_e64 s[0:1], s[42:43], v[0:1]
	v_addc_co_u32_e32 v9, vcc, v4, v3, vcc
	v_mov_b32_e32 v2, s30
	s_lshl_b64 s[6:7], s[14:15], 1
	s_lshl_b64 s[12:13], s[16:17], 1
	v_mov_b32_e32 v3, s31
	s_mov_b64 s[14:15], s[8:9]
	s_branch .LBB23_3
.LBB23_2:                               ;   in Loop: Header=BB23_3 Depth=1
	s_or_b64 exec, exec, s[16:17]
	s_add_u32 s14, s14, s28
	s_addc_u32 s15, s15, 0
	v_cmp_lt_i64_e32 vcc, s[14:15], v[2:3]
	s_cbranch_vccz .LBB23_6
.LBB23_3:                               ; =>This Loop Header: Depth=1
                                        ;     Child Loop BB23_5 Depth 2
	s_and_saveexec_b64 s[16:17], s[0:1]
	s_cbranch_execz .LBB23_2
; %bb.4:                                ;   in Loop: Header=BB23_3 Depth=1
	s_mul_hi_u32 s8, s14, s33
	s_add_i32 s8, s8, s14
	s_lshr_b32 s34, s8, s2
	s_mul_i32 s8, s34, s3
	s_ashr_i32 s36, s34, 31
	s_sub_i32 s35, s14, s8
	s_mul_i32 s8, s26, s36
	s_mul_hi_u32 s24, s26, s34
	s_add_i32 s8, s24, s8
	s_mul_i32 s24, s27, s34
	s_ashr_i32 s37, s35, 31
	s_add_i32 s25, s8, s24
	s_mul_i32 s8, s10, s37
	s_mul_hi_u32 s30, s10, s35
	s_mul_i32 s24, s26, s34
	s_add_i32 s8, s30, s8
	s_mul_i32 s30, s11, s35
	s_add_i32 s31, s8, s30
	s_lshl_b64 s[24:25], s[24:25], 2
	s_mul_i32 s30, s10, s35
	s_add_u32 s8, s38, s24
	s_addc_u32 s40, s39, s25
	s_lshl_b64 s[24:25], s[30:31], 2
	s_load_dword s31, s[4:5], 0x4
	s_add_u32 s24, s8, s24
	s_mul_i32 s8, s20, s36
	s_mul_hi_u32 s30, s20, s34
	s_addc_u32 s25, s40, s25
	s_add_i32 s8, s30, s8
	s_mul_i32 s30, s21, s34
	s_add_i32 s40, s8, s30
	s_waitcnt lgkmcnt(0)
	s_mul_i32 s8, s31, s29
	s_mul_i32 s30, s6, s36
	s_mul_hi_u32 s31, s6, s34
	s_add_i32 s30, s31, s30
	s_mul_i32 s31, s7, s34
	s_mul_i32 s41, s20, s34
	s_add_i32 s30, s30, s31
	s_mul_i32 s31, s6, s34
	s_mul_i32 s34, s12, s37
	s_mul_hi_u32 s36, s12, s35
	s_add_i32 s34, s36, s34
	s_mul_i32 s36, s13, s35
	s_add_i32 s34, s34, s36
	s_mul_i32 s36, s12, s35
	s_add_u32 s31, s31, s36
	s_addc_u32 s30, s30, s34
	s_mul_i32 s34, s22, s37
	s_mul_hi_u32 s36, s22, s35
	s_add_i32 s34, s36, s34
	s_mul_i32 s36, s23, s35
	v_mov_b32_e32 v4, s30
	v_add_co_u32_e32 v10, vcc, s31, v6
	s_lshl_b64 s[30:31], s[8:9], 1
	s_add_i32 s34, s34, s36
	s_mul_i32 s35, s22, s35
	s_add_u32 s35, s41, s35
	v_addc_co_u32_e32 v11, vcc, v7, v4, vcc
	s_addc_u32 s34, s40, s34
	v_mov_b32_e32 v4, s34
	v_add_co_u32_e32 v12, vcc, s35, v8
	v_addc_co_u32_e32 v13, vcc, v9, v4, vcc
	v_mov_b32_e32 v5, v1
	s_mov_b64 s[34:35], 0
	s_mov_b64 s[36:37], 0
	v_mov_b32_e32 v4, v0
.LBB23_5:                               ;   Parent Loop BB23_3 Depth=1
                                        ; =>  This Inner Loop Header: Depth=2
	global_load_dword v14, v1, s[24:25]
	v_mov_b32_e32 v15, s37
	s_waitcnt vmcnt(0)
	v_ashrrev_i32_e32 v16, 31, v14
	v_mul_hi_u32 v17, s18, v14
	v_mul_lo_u32 v16, s18, v16
	v_mul_lo_u32 v18, s19, v14
	;; [unrolled: 1-line block ×3, first 2 shown]
	v_add_u32_e32 v16, v17, v16
	v_add_u32_e32 v16, v16, v18
	v_add_co_u32_e32 v14, vcc, s36, v14
	v_addc_co_u32_e32 v15, vcc, v15, v16, vcc
	v_add_co_u32_e32 v14, vcc, v12, v14
	v_addc_co_u32_e32 v15, vcc, v13, v15, vcc
	global_load_ushort v16, v[14:15], off
	v_add_co_u32_e32 v4, vcc, s8, v4
	v_addc_co_u32_e32 v5, vcc, 0, v5, vcc
	v_mov_b32_e32 v15, s37
	v_add_co_u32_e32 v14, vcc, s36, v10
	v_addc_co_u32_e32 v15, vcc, v11, v15, vcc
	v_cmp_le_i64_e32 vcc, s[42:43], v[4:5]
	s_add_u32 s36, s36, s30
	s_addc_u32 s37, s37, s31
	s_or_b64 s[34:35], vcc, s[34:35]
	s_waitcnt vmcnt(0)
	v_lshlrev_b32_e32 v16, 16, v16
	v_cvt_f16_f32_e32 v16, v16
	global_store_short v[14:15], v16, off
	s_andn2_b64 exec, exec, s[34:35]
	s_cbranch_execnz .LBB23_5
	s_branch .LBB23_2
.LBB23_6:
	s_endpgm
	.section	.rodata,"a",@progbits
	.p2align	6, 0x0
	.amdhsa_kernel _ZL16k_get_rows_floatI14__hip_bfloat166__halfEvPKT_PKiPT0_ll15HIP_vector_typeIjLj3EEmmmmmmmmm
		.amdhsa_group_segment_fixed_size 0
		.amdhsa_private_segment_fixed_size 0
		.amdhsa_kernarg_size 384
		.amdhsa_user_sgpr_count 6
		.amdhsa_user_sgpr_private_segment_buffer 1
		.amdhsa_user_sgpr_dispatch_ptr 0
		.amdhsa_user_sgpr_queue_ptr 0
		.amdhsa_user_sgpr_kernarg_segment_ptr 1
		.amdhsa_user_sgpr_dispatch_id 0
		.amdhsa_user_sgpr_flat_scratch_init 0
		.amdhsa_user_sgpr_private_segment_size 0
		.amdhsa_uses_dynamic_stack 0
		.amdhsa_system_sgpr_private_segment_wavefront_offset 0
		.amdhsa_system_sgpr_workgroup_id_x 1
		.amdhsa_system_sgpr_workgroup_id_y 1
		.amdhsa_system_sgpr_workgroup_id_z 1
		.amdhsa_system_sgpr_workgroup_info 0
		.amdhsa_system_vgpr_workitem_id 0
		.amdhsa_next_free_vgpr 19
		.amdhsa_next_free_sgpr 44
		.amdhsa_reserve_vcc 1
		.amdhsa_reserve_flat_scratch 0
		.amdhsa_float_round_mode_32 0
		.amdhsa_float_round_mode_16_64 0
		.amdhsa_float_denorm_mode_32 3
		.amdhsa_float_denorm_mode_16_64 3
		.amdhsa_dx10_clamp 1
		.amdhsa_ieee_mode 1
		.amdhsa_fp16_overflow 0
		.amdhsa_exception_fp_ieee_invalid_op 0
		.amdhsa_exception_fp_denorm_src 0
		.amdhsa_exception_fp_ieee_div_zero 0
		.amdhsa_exception_fp_ieee_overflow 0
		.amdhsa_exception_fp_ieee_underflow 0
		.amdhsa_exception_fp_ieee_inexact 0
		.amdhsa_exception_int_div_zero 0
	.end_amdhsa_kernel
	.section	.text._ZL16k_get_rows_floatI14__hip_bfloat166__halfEvPKT_PKiPT0_ll15HIP_vector_typeIjLj3EEmmmmmmmmm,"axG",@progbits,_ZL16k_get_rows_floatI14__hip_bfloat166__halfEvPKT_PKiPT0_ll15HIP_vector_typeIjLj3EEmmmmmmmmm,comdat
.Lfunc_end23:
	.size	_ZL16k_get_rows_floatI14__hip_bfloat166__halfEvPKT_PKiPT0_ll15HIP_vector_typeIjLj3EEmmmmmmmmm, .Lfunc_end23-_ZL16k_get_rows_floatI14__hip_bfloat166__halfEvPKT_PKiPT0_ll15HIP_vector_typeIjLj3EEmmmmmmmmm
                                        ; -- End function
	.set _ZL16k_get_rows_floatI14__hip_bfloat166__halfEvPKT_PKiPT0_ll15HIP_vector_typeIjLj3EEmmmmmmmmm.num_vgpr, 19
	.set _ZL16k_get_rows_floatI14__hip_bfloat166__halfEvPKT_PKiPT0_ll15HIP_vector_typeIjLj3EEmmmmmmmmm.num_agpr, 0
	.set _ZL16k_get_rows_floatI14__hip_bfloat166__halfEvPKT_PKiPT0_ll15HIP_vector_typeIjLj3EEmmmmmmmmm.numbered_sgpr, 44
	.set _ZL16k_get_rows_floatI14__hip_bfloat166__halfEvPKT_PKiPT0_ll15HIP_vector_typeIjLj3EEmmmmmmmmm.num_named_barrier, 0
	.set _ZL16k_get_rows_floatI14__hip_bfloat166__halfEvPKT_PKiPT0_ll15HIP_vector_typeIjLj3EEmmmmmmmmm.private_seg_size, 0
	.set _ZL16k_get_rows_floatI14__hip_bfloat166__halfEvPKT_PKiPT0_ll15HIP_vector_typeIjLj3EEmmmmmmmmm.uses_vcc, 1
	.set _ZL16k_get_rows_floatI14__hip_bfloat166__halfEvPKT_PKiPT0_ll15HIP_vector_typeIjLj3EEmmmmmmmmm.uses_flat_scratch, 0
	.set _ZL16k_get_rows_floatI14__hip_bfloat166__halfEvPKT_PKiPT0_ll15HIP_vector_typeIjLj3EEmmmmmmmmm.has_dyn_sized_stack, 0
	.set _ZL16k_get_rows_floatI14__hip_bfloat166__halfEvPKT_PKiPT0_ll15HIP_vector_typeIjLj3EEmmmmmmmmm.has_recursion, 0
	.set _ZL16k_get_rows_floatI14__hip_bfloat166__halfEvPKT_PKiPT0_ll15HIP_vector_typeIjLj3EEmmmmmmmmm.has_indirect_call, 0
	.section	.AMDGPU.csdata,"",@progbits
; Kernel info:
; codeLenInByte = 728
; TotalNumSgprs: 48
; NumVgprs: 19
; ScratchSize: 0
; MemoryBound: 0
; FloatMode: 240
; IeeeMode: 1
; LDSByteSize: 0 bytes/workgroup (compile time only)
; SGPRBlocks: 5
; VGPRBlocks: 4
; NumSGPRsForWavesPerEU: 48
; NumVGPRsForWavesPerEU: 19
; Occupancy: 10
; WaveLimiterHint : 1
; COMPUTE_PGM_RSRC2:SCRATCH_EN: 0
; COMPUTE_PGM_RSRC2:USER_SGPR: 6
; COMPUTE_PGM_RSRC2:TRAP_HANDLER: 0
; COMPUTE_PGM_RSRC2:TGID_X_EN: 1
; COMPUTE_PGM_RSRC2:TGID_Y_EN: 1
; COMPUTE_PGM_RSRC2:TGID_Z_EN: 1
; COMPUTE_PGM_RSRC2:TIDIG_COMP_CNT: 0
	.section	.text._ZL10k_get_rowsILi128ELi1EXadL_ZL15dequantize_q1_0PKvliR15HIP_vector_typeIfLj2EEEE6__halfEvS1_PKiPT2_llS2_IjLj3EEmmmmmmmmm,"axG",@progbits,_ZL10k_get_rowsILi128ELi1EXadL_ZL15dequantize_q1_0PKvliR15HIP_vector_typeIfLj2EEEE6__halfEvS1_PKiPT2_llS2_IjLj3EEmmmmmmmmm,comdat
	.globl	_ZL10k_get_rowsILi128ELi1EXadL_ZL15dequantize_q1_0PKvliR15HIP_vector_typeIfLj2EEEE6__halfEvS1_PKiPT2_llS2_IjLj3EEmmmmmmmmm ; -- Begin function _ZL10k_get_rowsILi128ELi1EXadL_ZL15dequantize_q1_0PKvliR15HIP_vector_typeIfLj2EEEE6__halfEvS1_PKiPT2_llS2_IjLj3EEmmmmmmmmm
	.p2align	8
	.type	_ZL10k_get_rowsILi128ELi1EXadL_ZL15dequantize_q1_0PKvliR15HIP_vector_typeIfLj2EEEE6__halfEvS1_PKiPT2_llS2_IjLj3EEmmmmmmmmm,@function
_ZL10k_get_rowsILi128ELi1EXadL_ZL15dequantize_q1_0PKvliR15HIP_vector_typeIfLj2EEEE6__halfEvS1_PKiPT2_llS2_IjLj3EEmmmmmmmmm: ; @_ZL10k_get_rowsILi128ELi1EXadL_ZL15dequantize_q1_0PKvliR15HIP_vector_typeIfLj2EEEE6__halfEvS1_PKiPT2_llS2_IjLj3EEmmmmmmmmm
; %bb.0:
	s_load_dwordx4 s[28:31], s[4:5], 0x18
	s_load_dwordx2 s[10:11], s[4:5], 0x2c
	s_mov_b32 s9, 0
	v_mov_b32_e32 v1, s8
	v_mov_b32_e32 v2, s9
	s_waitcnt lgkmcnt(0)
	s_mul_i32 s0, s31, s11
	s_mul_hi_u32 s1, s30, s11
	s_add_i32 s31, s1, s0
	s_mul_i32 s30, s30, s11
	v_cmp_le_i64_e32 vcc, s[30:31], v[1:2]
	s_cbranch_vccnz .LBB24_6
; %bb.1:
	s_load_dwordx4 s[36:39], s[4:5], 0x0
	s_load_dwordx2 s[2:3], s[4:5], 0x10
	s_load_dwordx2 s[34:35], s[4:5], 0x78
	;; [unrolled: 1-line block ×3, first 2 shown]
	s_load_dword s33, s[4:5], 0x28
	s_load_dwordx16 s[12:27], s[4:5], 0x38
	s_add_u32 s4, s4, 0x80
	s_addc_u32 s5, s5, 0
	s_waitcnt lgkmcnt(0)
	s_and_b32 s41, s41, 0xffff
	s_mul_i32 s7, s7, s41
	v_add_lshl_u32 v0, s7, v0, 1
	s_ashr_i32 s7, s6, 31
	s_mul_hi_u32 s42, s24, s6
	s_mul_i32 s43, s24, s7
	s_add_i32 s42, s42, s43
	s_mul_i32 s25, s25, s6
	s_add_i32 s25, s42, s25
	s_mul_i32 s24, s24, s6
	s_lshl_b64 s[24:25], s[24:25], 2
	s_add_u32 s44, s38, s24
	s_mul_hi_u32 s24, s12, s6
	s_mul_i32 s7, s12, s7
	s_addc_u32 s45, s39, s25
	s_add_i32 s7, s24, s7
	s_mul_i32 s13, s13, s6
	s_add_i32 s7, s7, s13
	s_mul_i32 s6, s12, s6
	v_mov_b32_e32 v1, 0
	s_lshl_b64 s[6:7], s[6:7], 1
	v_cmp_gt_i64_e64 s[0:1], s[28:29], v[0:1]
	s_add_u32 s46, s2, s6
	v_lshlrev_b64 v[2:3], 25, v[0:1]
	s_addc_u32 s47, s3, s7
	v_mov_b32_e32 v4, v1
	v_mov_b32_e32 v5, v0
	s_mov_b64 s[6:7], s[8:9]
	s_branch .LBB24_3
.LBB24_2:                               ;   in Loop: Header=BB24_3 Depth=1
	s_or_b64 exec, exec, s[12:13]
	s_add_u32 s6, s6, s40
	v_mov_b32_e32 v6, s30
	s_addc_u32 s7, s7, 0
	v_mov_b32_e32 v7, s31
	v_cmp_ge_i64_e32 vcc, s[6:7], v[6:7]
	s_cbranch_vccnz .LBB24_6
.LBB24_3:                               ; =>This Loop Header: Depth=1
                                        ;     Child Loop BB24_5 Depth 2
	s_and_saveexec_b64 s[12:13], s[0:1]
	s_cbranch_execz .LBB24_2
; %bb.4:                                ;   in Loop: Header=BB24_3 Depth=1
	s_mul_hi_u32 s2, s6, s33
	s_add_i32 s2, s2, s6
	s_lshr_b32 s8, s2, s10
	s_mul_i32 s2, s8, s11
	s_sub_i32 s38, s6, s2
	s_ashr_i32 s39, s8, 31
	s_mul_i32 s2, s26, s39
	s_mul_hi_u32 s3, s26, s8
	s_ashr_i32 s42, s38, 31
	s_add_i32 s2, s3, s2
	s_mul_i32 s3, s27, s8
	s_mul_i32 s24, s34, s42
	s_mul_hi_u32 s25, s34, s38
	s_add_i32 s3, s2, s3
	s_mul_i32 s2, s26, s8
	s_add_i32 s24, s25, s24
	s_mul_i32 s25, s35, s38
	s_add_i32 s25, s24, s25
	s_lshl_b64 s[2:3], s[2:3], 2
	s_mul_i32 s24, s34, s38
	s_add_u32 s43, s44, s2
	s_addc_u32 s48, s45, s3
	s_lshl_b64 s[2:3], s[24:25], 2
	s_add_u32 s2, s43, s2
	s_addc_u32 s3, s48, s3
	s_load_dword s24, s[2:3], 0x0
	s_mul_i32 s2, s14, s39
	s_mul_hi_u32 s3, s14, s8
	s_add_i32 s2, s3, s2
	s_mul_i32 s3, s15, s8
	s_add_i32 s3, s2, s3
	s_mul_i32 s2, s14, s8
	s_waitcnt lgkmcnt(0)
	s_ashr_i32 s25, s24, 31
	s_lshl_b64 s[2:3], s[2:3], 1
	s_add_u32 s43, s46, s2
	s_addc_u32 s49, s47, s3
	s_mul_i32 s2, s16, s42
	s_mul_hi_u32 s3, s16, s38
	s_add_i32 s2, s3, s2
	s_mul_i32 s3, s17, s38
	s_add_i32 s3, s2, s3
	s_mul_i32 s2, s16, s38
	s_lshl_b64 s[2:3], s[2:3], 1
	s_add_u32 s48, s43, s2
	s_addc_u32 s2, s49, s3
	s_mul_i32 s3, s18, s25
	s_mul_hi_u32 s25, s18, s24
	s_add_i32 s3, s25, s3
	s_mul_i32 s25, s19, s24
	s_add_i32 s3, s3, s25
	s_mul_i32 s24, s18, s24
	s_add_u32 s24, s36, s24
	s_mul_i32 s25, s20, s39
	s_mul_hi_u32 s39, s20, s8
	s_addc_u32 s3, s37, s3
	s_add_i32 s25, s39, s25
	s_mul_i32 s39, s21, s8
	s_add_i32 s25, s25, s39
	s_mul_i32 s8, s20, s8
	s_load_dword s39, s[4:5], 0x4
	s_add_u32 s8, s24, s8
	s_addc_u32 s3, s3, s25
	s_mul_i32 s24, s22, s42
	s_mul_hi_u32 s25, s22, s38
	s_add_i32 s24, s25, s24
	s_mul_i32 s25, s23, s38
	s_add_i32 s25, s24, s25
	s_mul_i32 s24, s22, s38
	s_add_u32 s24, s8, s24
	s_waitcnt lgkmcnt(0)
	s_mul_i32 s8, s39, s41
	s_addc_u32 s25, s3, s25
	s_lshl_b64 s[38:39], s[8:9], 25
	v_mov_b32_e32 v7, v5
	v_mov_b32_e32 v9, v3
	v_mov_b32_e32 v11, v1
	s_mov_b64 s[42:43], 0
	v_mov_b32_e32 v12, s2
	v_mov_b32_e32 v13, s39
	;; [unrolled: 1-line block ×6, first 2 shown]
.LBB24_5:                               ;   Parent Loop BB24_3 Depth=1
                                        ; =>  This Inner Loop Header: Depth=2
	v_mad_i64_i32 v[15:16], s[2:3], v9, 18, s[24:25]
	v_and_b32_e32 v17, 0x7f, v10
	v_bfe_u32 v18, v10, 3, 4
	v_add_u32_e32 v21, 1, v17
	v_add_co_u32_e32 v17, vcc, v15, v18
	v_lshrrev_b32_e32 v19, 3, v21
	v_addc_co_u32_e32 v18, vcc, 0, v16, vcc
	v_add_co_u32_e32 v19, vcc, v15, v19
	v_addc_co_u32_e32 v20, vcc, 0, v16, vcc
	global_load_ushort v22, v[15:16], off
	global_load_ubyte v23, v[17:18], off offset:2
	global_load_ubyte v24, v[19:20], off offset:2
	v_and_b32_e32 v17, 7, v10
	v_and_b32_e32 v18, 7, v21
	v_add_co_u32_e32 v10, vcc, s8, v10
	v_addc_co_u32_e32 v11, vcc, 0, v11, vcc
	v_add_co_u32_e32 v8, vcc, s38, v8
	v_addc_co_u32_e32 v9, vcc, v9, v13, vcc
	v_ashrrev_i64 v[15:16], 31, v[6:7]
	v_add_co_u32_e32 v6, vcc, 0, v6
	v_addc_co_u32_e32 v7, vcc, v7, v14, vcc
	v_cmp_le_i64_e32 vcc, s[28:29], v[10:11]
	v_add_co_u32_e64 v15, s[2:3], s48, v15
	v_addc_co_u32_e64 v16, s[2:3], v12, v16, s[2:3]
	s_or_b64 s[42:43], vcc, s[42:43]
	s_waitcnt vmcnt(1)
	v_lshrrev_b32_e32 v17, v17, v23
	s_waitcnt vmcnt(0)
	v_lshrrev_b32_e32 v18, v18, v24
	v_lshlrev_b32_e32 v17, 1, v17
	v_lshlrev_b32_e32 v18, 1, v18
	v_and_b32_e32 v17, 2, v17
	v_and_b32_e32 v18, 2, v18
	v_add_u32_e32 v17, -1, v17
	v_add_u32_e32 v18, -1, v18
	v_cvt_f32_i32_e32 v17, v17
	v_cvt_f32_i32_e32 v18, v18
	v_fma_mixlo_f16 v17, v22, v17, 0 op_sel_hi:[1,0,0]
	v_fma_mixhi_f16 v17, v22, v18, 0 op_sel_hi:[1,0,0]
	global_store_dword v[15:16], v17, off
	s_andn2_b64 exec, exec, s[42:43]
	s_cbranch_execnz .LBB24_5
	s_branch .LBB24_2
.LBB24_6:
	s_endpgm
	.section	.rodata,"a",@progbits
	.p2align	6, 0x0
	.amdhsa_kernel _ZL10k_get_rowsILi128ELi1EXadL_ZL15dequantize_q1_0PKvliR15HIP_vector_typeIfLj2EEEE6__halfEvS1_PKiPT2_llS2_IjLj3EEmmmmmmmmm
		.amdhsa_group_segment_fixed_size 0
		.amdhsa_private_segment_fixed_size 0
		.amdhsa_kernarg_size 384
		.amdhsa_user_sgpr_count 6
		.amdhsa_user_sgpr_private_segment_buffer 1
		.amdhsa_user_sgpr_dispatch_ptr 0
		.amdhsa_user_sgpr_queue_ptr 0
		.amdhsa_user_sgpr_kernarg_segment_ptr 1
		.amdhsa_user_sgpr_dispatch_id 0
		.amdhsa_user_sgpr_flat_scratch_init 0
		.amdhsa_user_sgpr_private_segment_size 0
		.amdhsa_uses_dynamic_stack 0
		.amdhsa_system_sgpr_private_segment_wavefront_offset 0
		.amdhsa_system_sgpr_workgroup_id_x 1
		.amdhsa_system_sgpr_workgroup_id_y 1
		.amdhsa_system_sgpr_workgroup_id_z 1
		.amdhsa_system_sgpr_workgroup_info 0
		.amdhsa_system_vgpr_workitem_id 0
		.amdhsa_next_free_vgpr 25
		.amdhsa_next_free_sgpr 50
		.amdhsa_reserve_vcc 1
		.amdhsa_reserve_flat_scratch 0
		.amdhsa_float_round_mode_32 0
		.amdhsa_float_round_mode_16_64 0
		.amdhsa_float_denorm_mode_32 3
		.amdhsa_float_denorm_mode_16_64 3
		.amdhsa_dx10_clamp 1
		.amdhsa_ieee_mode 1
		.amdhsa_fp16_overflow 0
		.amdhsa_exception_fp_ieee_invalid_op 0
		.amdhsa_exception_fp_denorm_src 0
		.amdhsa_exception_fp_ieee_div_zero 0
		.amdhsa_exception_fp_ieee_overflow 0
		.amdhsa_exception_fp_ieee_underflow 0
		.amdhsa_exception_fp_ieee_inexact 0
		.amdhsa_exception_int_div_zero 0
	.end_amdhsa_kernel
	.section	.text._ZL10k_get_rowsILi128ELi1EXadL_ZL15dequantize_q1_0PKvliR15HIP_vector_typeIfLj2EEEE6__halfEvS1_PKiPT2_llS2_IjLj3EEmmmmmmmmm,"axG",@progbits,_ZL10k_get_rowsILi128ELi1EXadL_ZL15dequantize_q1_0PKvliR15HIP_vector_typeIfLj2EEEE6__halfEvS1_PKiPT2_llS2_IjLj3EEmmmmmmmmm,comdat
.Lfunc_end24:
	.size	_ZL10k_get_rowsILi128ELi1EXadL_ZL15dequantize_q1_0PKvliR15HIP_vector_typeIfLj2EEEE6__halfEvS1_PKiPT2_llS2_IjLj3EEmmmmmmmmm, .Lfunc_end24-_ZL10k_get_rowsILi128ELi1EXadL_ZL15dequantize_q1_0PKvliR15HIP_vector_typeIfLj2EEEE6__halfEvS1_PKiPT2_llS2_IjLj3EEmmmmmmmmm
                                        ; -- End function
	.set _ZL10k_get_rowsILi128ELi1EXadL_ZL15dequantize_q1_0PKvliR15HIP_vector_typeIfLj2EEEE6__halfEvS1_PKiPT2_llS2_IjLj3EEmmmmmmmmm.num_vgpr, 25
	.set _ZL10k_get_rowsILi128ELi1EXadL_ZL15dequantize_q1_0PKvliR15HIP_vector_typeIfLj2EEEE6__halfEvS1_PKiPT2_llS2_IjLj3EEmmmmmmmmm.num_agpr, 0
	.set _ZL10k_get_rowsILi128ELi1EXadL_ZL15dequantize_q1_0PKvliR15HIP_vector_typeIfLj2EEEE6__halfEvS1_PKiPT2_llS2_IjLj3EEmmmmmmmmm.numbered_sgpr, 50
	.set _ZL10k_get_rowsILi128ELi1EXadL_ZL15dequantize_q1_0PKvliR15HIP_vector_typeIfLj2EEEE6__halfEvS1_PKiPT2_llS2_IjLj3EEmmmmmmmmm.num_named_barrier, 0
	.set _ZL10k_get_rowsILi128ELi1EXadL_ZL15dequantize_q1_0PKvliR15HIP_vector_typeIfLj2EEEE6__halfEvS1_PKiPT2_llS2_IjLj3EEmmmmmmmmm.private_seg_size, 0
	.set _ZL10k_get_rowsILi128ELi1EXadL_ZL15dequantize_q1_0PKvliR15HIP_vector_typeIfLj2EEEE6__halfEvS1_PKiPT2_llS2_IjLj3EEmmmmmmmmm.uses_vcc, 1
	.set _ZL10k_get_rowsILi128ELi1EXadL_ZL15dequantize_q1_0PKvliR15HIP_vector_typeIfLj2EEEE6__halfEvS1_PKiPT2_llS2_IjLj3EEmmmmmmmmm.uses_flat_scratch, 0
	.set _ZL10k_get_rowsILi128ELi1EXadL_ZL15dequantize_q1_0PKvliR15HIP_vector_typeIfLj2EEEE6__halfEvS1_PKiPT2_llS2_IjLj3EEmmmmmmmmm.has_dyn_sized_stack, 0
	.set _ZL10k_get_rowsILi128ELi1EXadL_ZL15dequantize_q1_0PKvliR15HIP_vector_typeIfLj2EEEE6__halfEvS1_PKiPT2_llS2_IjLj3EEmmmmmmmmm.has_recursion, 0
	.set _ZL10k_get_rowsILi128ELi1EXadL_ZL15dequantize_q1_0PKvliR15HIP_vector_typeIfLj2EEEE6__halfEvS1_PKiPT2_llS2_IjLj3EEmmmmmmmmm.has_indirect_call, 0
	.section	.AMDGPU.csdata,"",@progbits
; Kernel info:
; codeLenInByte = 856
; TotalNumSgprs: 54
; NumVgprs: 25
; ScratchSize: 0
; MemoryBound: 0
; FloatMode: 240
; IeeeMode: 1
; LDSByteSize: 0 bytes/workgroup (compile time only)
; SGPRBlocks: 6
; VGPRBlocks: 6
; NumSGPRsForWavesPerEU: 54
; NumVGPRsForWavesPerEU: 25
; Occupancy: 9
; WaveLimiterHint : 1
; COMPUTE_PGM_RSRC2:SCRATCH_EN: 0
; COMPUTE_PGM_RSRC2:USER_SGPR: 6
; COMPUTE_PGM_RSRC2:TRAP_HANDLER: 0
; COMPUTE_PGM_RSRC2:TGID_X_EN: 1
; COMPUTE_PGM_RSRC2:TGID_Y_EN: 1
; COMPUTE_PGM_RSRC2:TGID_Z_EN: 1
; COMPUTE_PGM_RSRC2:TIDIG_COMP_CNT: 0
	.section	.text._ZL10k_get_rowsILi32ELi2EXadL_ZL15dequantize_q4_0PKvliR15HIP_vector_typeIfLj2EEEE6__halfEvS1_PKiPT2_llS2_IjLj3EEmmmmmmmmm,"axG",@progbits,_ZL10k_get_rowsILi32ELi2EXadL_ZL15dequantize_q4_0PKvliR15HIP_vector_typeIfLj2EEEE6__halfEvS1_PKiPT2_llS2_IjLj3EEmmmmmmmmm,comdat
	.globl	_ZL10k_get_rowsILi32ELi2EXadL_ZL15dequantize_q4_0PKvliR15HIP_vector_typeIfLj2EEEE6__halfEvS1_PKiPT2_llS2_IjLj3EEmmmmmmmmm ; -- Begin function _ZL10k_get_rowsILi32ELi2EXadL_ZL15dequantize_q4_0PKvliR15HIP_vector_typeIfLj2EEEE6__halfEvS1_PKiPT2_llS2_IjLj3EEmmmmmmmmm
	.p2align	8
	.type	_ZL10k_get_rowsILi32ELi2EXadL_ZL15dequantize_q4_0PKvliR15HIP_vector_typeIfLj2EEEE6__halfEvS1_PKiPT2_llS2_IjLj3EEmmmmmmmmm,@function
_ZL10k_get_rowsILi32ELi2EXadL_ZL15dequantize_q4_0PKvliR15HIP_vector_typeIfLj2EEEE6__halfEvS1_PKiPT2_llS2_IjLj3EEmmmmmmmmm: ; @_ZL10k_get_rowsILi32ELi2EXadL_ZL15dequantize_q4_0PKvliR15HIP_vector_typeIfLj2EEEE6__halfEvS1_PKiPT2_llS2_IjLj3EEmmmmmmmmm
; %bb.0:
	s_load_dwordx4 s[28:31], s[4:5], 0x18
	s_load_dwordx2 s[2:3], s[4:5], 0x2c
	s_mov_b32 s9, 0
	v_mov_b32_e32 v1, s8
	v_mov_b32_e32 v2, s9
	s_waitcnt lgkmcnt(0)
	s_mul_i32 s0, s31, s3
	s_mul_hi_u32 s1, s30, s3
	s_add_i32 s35, s1, s0
	s_mul_i32 s34, s30, s3
	v_cmp_le_i64_e32 vcc, s[34:35], v[1:2]
	s_cbranch_vccnz .LBB25_6
; %bb.1:
	s_load_dwordx4 s[36:39], s[4:5], 0x0
	s_load_dwordx2 s[42:43], s[4:5], 0x10
	s_load_dwordx2 s[10:11], s[4:5], 0x78
	;; [unrolled: 1-line block ×3, first 2 shown]
	s_load_dword s33, s[4:5], 0x28
	s_load_dwordx16 s[12:27], s[4:5], 0x38
	s_add_u32 s4, s4, 0x80
	s_addc_u32 s5, s5, 0
	s_waitcnt lgkmcnt(0)
	s_and_b32 s31, s31, 0xffff
	s_mul_i32 s7, s7, s31
	v_add_lshl_u32 v0, s7, v0, 1
	s_ashr_i32 s7, s6, 31
	s_mul_hi_u32 s40, s24, s6
	s_mul_i32 s41, s24, s7
	s_add_i32 s40, s40, s41
	s_mul_i32 s25, s25, s6
	s_add_i32 s25, s40, s25
	s_mul_i32 s24, s24, s6
	s_lshl_b64 s[24:25], s[24:25], 2
	s_add_u32 s40, s38, s24
	s_mul_hi_u32 s24, s12, s6
	s_mul_i32 s7, s12, s7
	s_addc_u32 s41, s39, s25
	s_add_i32 s7, s24, s7
	s_mul_i32 s13, s13, s6
	s_add_i32 s7, s7, s13
	s_mul_i32 s6, s12, s6
	v_mov_b32_e32 v1, 0
	s_lshl_b64 s[6:7], s[6:7], 1
	v_cmp_gt_i64_e64 s[0:1], s[28:29], v[0:1]
	s_add_u32 s42, s42, s6
	v_lshlrev_b64 v[2:3], 27, v[0:1]
	v_mov_b32_e32 v4, s34
	s_addc_u32 s43, s43, s7
	s_movk_i32 s44, 0xffe0
	v_mov_b32_e32 v5, s35
	s_mov_b64 s[6:7], s[8:9]
	s_branch .LBB25_3
.LBB25_2:                               ;   in Loop: Header=BB25_3 Depth=1
	s_or_b64 exec, exec, s[12:13]
	s_add_u32 s6, s6, s30
	s_addc_u32 s7, s7, 0
	v_cmp_ge_i64_e32 vcc, s[6:7], v[4:5]
	s_cbranch_vccnz .LBB25_6
.LBB25_3:                               ; =>This Loop Header: Depth=1
                                        ;     Child Loop BB25_5 Depth 2
	s_and_saveexec_b64 s[12:13], s[0:1]
	s_cbranch_execz .LBB25_2
; %bb.4:                                ;   in Loop: Header=BB25_3 Depth=1
	s_mul_hi_u32 s8, s6, s33
	s_add_i32 s8, s8, s6
	s_lshr_b32 s8, s8, s2
	s_mul_i32 s24, s8, s3
	s_sub_i32 s38, s6, s24
	s_ashr_i32 s39, s8, 31
	s_mul_i32 s24, s26, s39
	s_mul_hi_u32 s25, s26, s8
	s_ashr_i32 s46, s38, 31
	s_add_i32 s24, s25, s24
	s_mul_i32 s25, s27, s8
	s_mul_i32 s34, s10, s46
	s_mul_hi_u32 s35, s10, s38
	s_add_i32 s25, s24, s25
	s_mul_i32 s24, s26, s8
	s_add_i32 s34, s35, s34
	s_mul_i32 s35, s11, s38
	s_add_i32 s35, s34, s35
	s_lshl_b64 s[24:25], s[24:25], 2
	s_mul_i32 s34, s10, s38
	s_add_u32 s45, s40, s24
	s_addc_u32 s47, s41, s25
	s_lshl_b64 s[24:25], s[34:35], 2
	s_add_u32 s24, s45, s24
	s_addc_u32 s25, s47, s25
	s_load_dword s34, s[24:25], 0x0
	s_mul_i32 s24, s14, s39
	s_mul_hi_u32 s25, s14, s8
	s_add_i32 s24, s25, s24
	s_mul_i32 s25, s15, s8
	s_add_i32 s25, s24, s25
	s_mul_i32 s24, s14, s8
	s_waitcnt lgkmcnt(0)
	s_ashr_i32 s35, s34, 31
	s_lshl_b64 s[24:25], s[24:25], 1
	s_add_u32 s45, s42, s24
	s_addc_u32 s47, s43, s25
	s_mul_i32 s24, s16, s46
	s_mul_hi_u32 s25, s16, s38
	s_add_i32 s24, s25, s24
	s_mul_i32 s25, s17, s38
	s_add_i32 s25, s24, s25
	s_mul_i32 s24, s16, s38
	s_lshl_b64 s[24:25], s[24:25], 1
	s_add_u32 s45, s45, s24
	s_addc_u32 s47, s47, s25
	s_mul_i32 s24, s18, s35
	s_mul_hi_u32 s25, s18, s34
	s_add_i32 s24, s25, s24
	s_mul_i32 s25, s19, s34
	s_add_i32 s24, s24, s25
	s_mul_i32 s25, s18, s34
	s_add_u32 s25, s36, s25
	s_mul_i32 s34, s20, s39
	s_mul_hi_u32 s35, s20, s8
	s_addc_u32 s24, s37, s24
	s_add_i32 s34, s35, s34
	s_mul_i32 s35, s21, s8
	s_add_i32 s34, s34, s35
	s_mul_i32 s8, s20, s8
	s_load_dword s35, s[4:5], 0x4
	s_add_u32 s8, s25, s8
	s_addc_u32 s25, s24, s34
	s_mul_i32 s24, s22, s46
	s_mul_hi_u32 s34, s22, s38
	s_add_i32 s24, s34, s24
	s_mul_i32 s34, s23, s38
	s_add_i32 s34, s24, s34
	s_mul_i32 s24, s22, s38
	s_add_u32 s24, s8, s24
	s_waitcnt lgkmcnt(0)
	s_mul_i32 s8, s35, s31
	s_addc_u32 s25, s25, s34
	s_lshl_b64 s[34:35], s[8:9], 27
	v_mov_b32_e32 v7, v3
	v_mov_b32_e32 v9, v1
	s_mov_b64 s[38:39], 0
	v_mov_b32_e32 v10, s47
	v_mov_b32_e32 v11, s35
	;; [unrolled: 1-line block ×4, first 2 shown]
.LBB25_5:                               ;   Parent Loop BB25_3 Depth=1
                                        ; =>  This Inner Loop Header: Depth=2
	v_mad_i64_i32 v[12:13], s[46:47], v7, 18, s[24:25]
	v_bfe_u32 v16, v8, 1, 4
	v_add_co_u32_e32 v14, vcc, v12, v16
	v_addc_co_u32_e32 v15, vcc, 0, v13, vcc
	global_load_ushort v17, v[12:13], off
	global_load_ubyte v18, v[14:15], off offset:2
	v_add_co_u32_e32 v6, vcc, s34, v6
	v_addc_co_u32_e32 v7, vcc, v7, v11, vcc
	v_and_or_b32 v12, v8, s44, v16
	v_add_co_u32_e32 v8, vcc, s8, v8
	v_addc_co_u32_e32 v9, vcc, 0, v9, vcc
	v_ashrrev_i32_e32 v13, 31, v12
	v_cmp_le_i64_e32 vcc, s[28:29], v[8:9]
	v_lshlrev_b64 v[12:13], 1, v[12:13]
	s_or_b64 s[38:39], vcc, s[38:39]
	v_add_co_u32_e32 v12, vcc, s45, v12
	v_addc_co_u32_e32 v13, vcc, v10, v13, vcc
	s_waitcnt vmcnt(0)
	v_and_b32_e32 v14, 15, v18
	v_lshrrev_b32_e32 v15, 4, v18
	v_add_u32_e32 v14, -8, v14
	v_add_u32_e32 v15, -8, v15
	v_cvt_f32_i32_e32 v14, v14
	v_cvt_f32_i32_e32 v15, v15
	v_fma_mixlo_f16 v14, v17, v14, 0 op_sel_hi:[1,0,0]
	v_fma_mixlo_f16 v15, v17, v15, 0 op_sel_hi:[1,0,0]
	global_store_short v[12:13], v14, off
	global_store_short v[12:13], v15, off offset:32
	s_andn2_b64 exec, exec, s[38:39]
	s_cbranch_execnz .LBB25_5
	s_branch .LBB25_2
.LBB25_6:
	s_endpgm
	.section	.rodata,"a",@progbits
	.p2align	6, 0x0
	.amdhsa_kernel _ZL10k_get_rowsILi32ELi2EXadL_ZL15dequantize_q4_0PKvliR15HIP_vector_typeIfLj2EEEE6__halfEvS1_PKiPT2_llS2_IjLj3EEmmmmmmmmm
		.amdhsa_group_segment_fixed_size 0
		.amdhsa_private_segment_fixed_size 0
		.amdhsa_kernarg_size 384
		.amdhsa_user_sgpr_count 6
		.amdhsa_user_sgpr_private_segment_buffer 1
		.amdhsa_user_sgpr_dispatch_ptr 0
		.amdhsa_user_sgpr_queue_ptr 0
		.amdhsa_user_sgpr_kernarg_segment_ptr 1
		.amdhsa_user_sgpr_dispatch_id 0
		.amdhsa_user_sgpr_flat_scratch_init 0
		.amdhsa_user_sgpr_private_segment_size 0
		.amdhsa_uses_dynamic_stack 0
		.amdhsa_system_sgpr_private_segment_wavefront_offset 0
		.amdhsa_system_sgpr_workgroup_id_x 1
		.amdhsa_system_sgpr_workgroup_id_y 1
		.amdhsa_system_sgpr_workgroup_id_z 1
		.amdhsa_system_sgpr_workgroup_info 0
		.amdhsa_system_vgpr_workitem_id 0
		.amdhsa_next_free_vgpr 19
		.amdhsa_next_free_sgpr 48
		.amdhsa_reserve_vcc 1
		.amdhsa_reserve_flat_scratch 0
		.amdhsa_float_round_mode_32 0
		.amdhsa_float_round_mode_16_64 0
		.amdhsa_float_denorm_mode_32 3
		.amdhsa_float_denorm_mode_16_64 3
		.amdhsa_dx10_clamp 1
		.amdhsa_ieee_mode 1
		.amdhsa_fp16_overflow 0
		.amdhsa_exception_fp_ieee_invalid_op 0
		.amdhsa_exception_fp_denorm_src 0
		.amdhsa_exception_fp_ieee_div_zero 0
		.amdhsa_exception_fp_ieee_overflow 0
		.amdhsa_exception_fp_ieee_underflow 0
		.amdhsa_exception_fp_ieee_inexact 0
		.amdhsa_exception_int_div_zero 0
	.end_amdhsa_kernel
	.section	.text._ZL10k_get_rowsILi32ELi2EXadL_ZL15dequantize_q4_0PKvliR15HIP_vector_typeIfLj2EEEE6__halfEvS1_PKiPT2_llS2_IjLj3EEmmmmmmmmm,"axG",@progbits,_ZL10k_get_rowsILi32ELi2EXadL_ZL15dequantize_q4_0PKvliR15HIP_vector_typeIfLj2EEEE6__halfEvS1_PKiPT2_llS2_IjLj3EEmmmmmmmmm,comdat
.Lfunc_end25:
	.size	_ZL10k_get_rowsILi32ELi2EXadL_ZL15dequantize_q4_0PKvliR15HIP_vector_typeIfLj2EEEE6__halfEvS1_PKiPT2_llS2_IjLj3EEmmmmmmmmm, .Lfunc_end25-_ZL10k_get_rowsILi32ELi2EXadL_ZL15dequantize_q4_0PKvliR15HIP_vector_typeIfLj2EEEE6__halfEvS1_PKiPT2_llS2_IjLj3EEmmmmmmmmm
                                        ; -- End function
	.set _ZL10k_get_rowsILi32ELi2EXadL_ZL15dequantize_q4_0PKvliR15HIP_vector_typeIfLj2EEEE6__halfEvS1_PKiPT2_llS2_IjLj3EEmmmmmmmmm.num_vgpr, 19
	.set _ZL10k_get_rowsILi32ELi2EXadL_ZL15dequantize_q4_0PKvliR15HIP_vector_typeIfLj2EEEE6__halfEvS1_PKiPT2_llS2_IjLj3EEmmmmmmmmm.num_agpr, 0
	.set _ZL10k_get_rowsILi32ELi2EXadL_ZL15dequantize_q4_0PKvliR15HIP_vector_typeIfLj2EEEE6__halfEvS1_PKiPT2_llS2_IjLj3EEmmmmmmmmm.numbered_sgpr, 48
	.set _ZL10k_get_rowsILi32ELi2EXadL_ZL15dequantize_q4_0PKvliR15HIP_vector_typeIfLj2EEEE6__halfEvS1_PKiPT2_llS2_IjLj3EEmmmmmmmmm.num_named_barrier, 0
	.set _ZL10k_get_rowsILi32ELi2EXadL_ZL15dequantize_q4_0PKvliR15HIP_vector_typeIfLj2EEEE6__halfEvS1_PKiPT2_llS2_IjLj3EEmmmmmmmmm.private_seg_size, 0
	.set _ZL10k_get_rowsILi32ELi2EXadL_ZL15dequantize_q4_0PKvliR15HIP_vector_typeIfLj2EEEE6__halfEvS1_PKiPT2_llS2_IjLj3EEmmmmmmmmm.uses_vcc, 1
	.set _ZL10k_get_rowsILi32ELi2EXadL_ZL15dequantize_q4_0PKvliR15HIP_vector_typeIfLj2EEEE6__halfEvS1_PKiPT2_llS2_IjLj3EEmmmmmmmmm.uses_flat_scratch, 0
	.set _ZL10k_get_rowsILi32ELi2EXadL_ZL15dequantize_q4_0PKvliR15HIP_vector_typeIfLj2EEEE6__halfEvS1_PKiPT2_llS2_IjLj3EEmmmmmmmmm.has_dyn_sized_stack, 0
	.set _ZL10k_get_rowsILi32ELi2EXadL_ZL15dequantize_q4_0PKvliR15HIP_vector_typeIfLj2EEEE6__halfEvS1_PKiPT2_llS2_IjLj3EEmmmmmmmmm.has_recursion, 0
	.set _ZL10k_get_rowsILi32ELi2EXadL_ZL15dequantize_q4_0PKvliR15HIP_vector_typeIfLj2EEEE6__halfEvS1_PKiPT2_llS2_IjLj3EEmmmmmmmmm.has_indirect_call, 0
	.section	.AMDGPU.csdata,"",@progbits
; Kernel info:
; codeLenInByte = 784
; TotalNumSgprs: 52
; NumVgprs: 19
; ScratchSize: 0
; MemoryBound: 0
; FloatMode: 240
; IeeeMode: 1
; LDSByteSize: 0 bytes/workgroup (compile time only)
; SGPRBlocks: 6
; VGPRBlocks: 4
; NumSGPRsForWavesPerEU: 52
; NumVGPRsForWavesPerEU: 19
; Occupancy: 10
; WaveLimiterHint : 1
; COMPUTE_PGM_RSRC2:SCRATCH_EN: 0
; COMPUTE_PGM_RSRC2:USER_SGPR: 6
; COMPUTE_PGM_RSRC2:TRAP_HANDLER: 0
; COMPUTE_PGM_RSRC2:TGID_X_EN: 1
; COMPUTE_PGM_RSRC2:TGID_Y_EN: 1
; COMPUTE_PGM_RSRC2:TGID_Z_EN: 1
; COMPUTE_PGM_RSRC2:TIDIG_COMP_CNT: 0
	.section	.text._ZL10k_get_rowsILi32ELi2EXadL_ZL15dequantize_q4_1PKvliR15HIP_vector_typeIfLj2EEEE6__halfEvS1_PKiPT2_llS2_IjLj3EEmmmmmmmmm,"axG",@progbits,_ZL10k_get_rowsILi32ELi2EXadL_ZL15dequantize_q4_1PKvliR15HIP_vector_typeIfLj2EEEE6__halfEvS1_PKiPT2_llS2_IjLj3EEmmmmmmmmm,comdat
	.globl	_ZL10k_get_rowsILi32ELi2EXadL_ZL15dequantize_q4_1PKvliR15HIP_vector_typeIfLj2EEEE6__halfEvS1_PKiPT2_llS2_IjLj3EEmmmmmmmmm ; -- Begin function _ZL10k_get_rowsILi32ELi2EXadL_ZL15dequantize_q4_1PKvliR15HIP_vector_typeIfLj2EEEE6__halfEvS1_PKiPT2_llS2_IjLj3EEmmmmmmmmm
	.p2align	8
	.type	_ZL10k_get_rowsILi32ELi2EXadL_ZL15dequantize_q4_1PKvliR15HIP_vector_typeIfLj2EEEE6__halfEvS1_PKiPT2_llS2_IjLj3EEmmmmmmmmm,@function
_ZL10k_get_rowsILi32ELi2EXadL_ZL15dequantize_q4_1PKvliR15HIP_vector_typeIfLj2EEEE6__halfEvS1_PKiPT2_llS2_IjLj3EEmmmmmmmmm: ; @_ZL10k_get_rowsILi32ELi2EXadL_ZL15dequantize_q4_1PKvliR15HIP_vector_typeIfLj2EEEE6__halfEvS1_PKiPT2_llS2_IjLj3EEmmmmmmmmm
; %bb.0:
	s_load_dwordx4 s[28:31], s[4:5], 0x18
	s_load_dwordx2 s[2:3], s[4:5], 0x2c
	s_mov_b32 s9, 0
	v_mov_b32_e32 v1, s8
	v_mov_b32_e32 v2, s9
	s_waitcnt lgkmcnt(0)
	s_mul_i32 s0, s31, s3
	s_mul_hi_u32 s1, s30, s3
	s_add_i32 s35, s1, s0
	s_mul_i32 s34, s30, s3
	v_cmp_le_i64_e32 vcc, s[34:35], v[1:2]
	s_cbranch_vccnz .LBB26_6
; %bb.1:
	s_load_dwordx4 s[36:39], s[4:5], 0x0
	s_load_dwordx2 s[42:43], s[4:5], 0x10
	s_load_dwordx2 s[10:11], s[4:5], 0x78
	;; [unrolled: 1-line block ×3, first 2 shown]
	s_load_dword s33, s[4:5], 0x28
	s_load_dwordx16 s[12:27], s[4:5], 0x38
	s_add_u32 s4, s4, 0x80
	s_addc_u32 s5, s5, 0
	s_waitcnt lgkmcnt(0)
	s_and_b32 s31, s31, 0xffff
	s_mul_i32 s7, s7, s31
	v_add_lshl_u32 v0, s7, v0, 1
	s_ashr_i32 s7, s6, 31
	s_mul_hi_u32 s40, s24, s6
	s_mul_i32 s41, s24, s7
	s_add_i32 s40, s40, s41
	s_mul_i32 s25, s25, s6
	s_add_i32 s25, s40, s25
	s_mul_i32 s24, s24, s6
	s_lshl_b64 s[24:25], s[24:25], 2
	s_add_u32 s40, s38, s24
	s_mul_hi_u32 s24, s12, s6
	s_mul_i32 s7, s12, s7
	s_addc_u32 s41, s39, s25
	s_add_i32 s7, s24, s7
	s_mul_i32 s13, s13, s6
	s_add_i32 s7, s7, s13
	s_mul_i32 s6, s12, s6
	v_mov_b32_e32 v1, 0
	s_lshl_b64 s[6:7], s[6:7], 1
	v_cmp_gt_i64_e64 s[0:1], s[28:29], v[0:1]
	s_add_u32 s42, s42, s6
	v_lshlrev_b64 v[2:3], 27, v[0:1]
	v_mov_b32_e32 v4, s34
	s_addc_u32 s43, s43, s7
	s_movk_i32 s44, 0xffe0
	v_mov_b32_e32 v5, s35
	s_mov_b64 s[6:7], s[8:9]
	s_branch .LBB26_3
.LBB26_2:                               ;   in Loop: Header=BB26_3 Depth=1
	s_or_b64 exec, exec, s[12:13]
	s_add_u32 s6, s6, s30
	s_addc_u32 s7, s7, 0
	v_cmp_ge_i64_e32 vcc, s[6:7], v[4:5]
	s_cbranch_vccnz .LBB26_6
.LBB26_3:                               ; =>This Loop Header: Depth=1
                                        ;     Child Loop BB26_5 Depth 2
	s_and_saveexec_b64 s[12:13], s[0:1]
	s_cbranch_execz .LBB26_2
; %bb.4:                                ;   in Loop: Header=BB26_3 Depth=1
	s_mul_hi_u32 s8, s6, s33
	s_add_i32 s8, s8, s6
	s_lshr_b32 s8, s8, s2
	s_mul_i32 s24, s8, s3
	s_sub_i32 s38, s6, s24
	s_ashr_i32 s39, s8, 31
	s_mul_i32 s24, s26, s39
	s_mul_hi_u32 s25, s26, s8
	s_ashr_i32 s46, s38, 31
	s_add_i32 s24, s25, s24
	s_mul_i32 s25, s27, s8
	s_mul_i32 s34, s10, s46
	s_mul_hi_u32 s35, s10, s38
	s_add_i32 s25, s24, s25
	s_mul_i32 s24, s26, s8
	s_add_i32 s34, s35, s34
	s_mul_i32 s35, s11, s38
	s_add_i32 s35, s34, s35
	s_lshl_b64 s[24:25], s[24:25], 2
	s_mul_i32 s34, s10, s38
	s_add_u32 s45, s40, s24
	s_addc_u32 s47, s41, s25
	s_lshl_b64 s[24:25], s[34:35], 2
	s_add_u32 s24, s45, s24
	s_addc_u32 s25, s47, s25
	s_load_dword s34, s[24:25], 0x0
	s_mul_i32 s24, s14, s39
	s_mul_hi_u32 s25, s14, s8
	s_add_i32 s24, s25, s24
	s_mul_i32 s25, s15, s8
	s_add_i32 s25, s24, s25
	s_mul_i32 s24, s14, s8
	s_waitcnt lgkmcnt(0)
	s_ashr_i32 s35, s34, 31
	s_lshl_b64 s[24:25], s[24:25], 1
	s_add_u32 s45, s42, s24
	s_addc_u32 s47, s43, s25
	s_mul_i32 s24, s16, s46
	s_mul_hi_u32 s25, s16, s38
	s_add_i32 s24, s25, s24
	s_mul_i32 s25, s17, s38
	s_add_i32 s25, s24, s25
	s_mul_i32 s24, s16, s38
	s_lshl_b64 s[24:25], s[24:25], 1
	s_add_u32 s45, s45, s24
	s_addc_u32 s47, s47, s25
	s_mul_i32 s24, s18, s35
	s_mul_hi_u32 s25, s18, s34
	s_add_i32 s24, s25, s24
	s_mul_i32 s25, s19, s34
	s_add_i32 s24, s24, s25
	s_mul_i32 s25, s18, s34
	s_add_u32 s25, s36, s25
	s_mul_i32 s34, s20, s39
	s_mul_hi_u32 s35, s20, s8
	s_addc_u32 s24, s37, s24
	s_add_i32 s34, s35, s34
	s_mul_i32 s35, s21, s8
	s_add_i32 s34, s34, s35
	s_mul_i32 s8, s20, s8
	s_load_dword s35, s[4:5], 0x4
	s_add_u32 s8, s25, s8
	s_addc_u32 s25, s24, s34
	s_mul_i32 s24, s22, s46
	s_mul_hi_u32 s34, s22, s38
	s_add_i32 s24, s34, s24
	s_mul_i32 s34, s23, s38
	s_add_i32 s34, s24, s34
	s_mul_i32 s24, s22, s38
	s_add_u32 s24, s8, s24
	s_waitcnt lgkmcnt(0)
	s_mul_i32 s8, s35, s31
	s_addc_u32 s25, s25, s34
	s_lshl_b64 s[34:35], s[8:9], 27
	v_mov_b32_e32 v7, v3
	v_mov_b32_e32 v9, v1
	s_mov_b64 s[38:39], 0
	v_mov_b32_e32 v10, s47
	v_mov_b32_e32 v11, s35
	;; [unrolled: 1-line block ×4, first 2 shown]
.LBB26_5:                               ;   Parent Loop BB26_3 Depth=1
                                        ; =>  This Inner Loop Header: Depth=2
	v_mad_i64_i32 v[12:13], s[46:47], v7, 20, s[24:25]
	v_bfe_u32 v16, v8, 1, 4
	v_add_co_u32_e32 v14, vcc, v12, v16
	v_addc_co_u32_e32 v15, vcc, 0, v13, vcc
	global_load_dword v17, v[12:13], off
	global_load_ubyte v18, v[14:15], off offset:4
	v_add_co_u32_e32 v6, vcc, s34, v6
	v_addc_co_u32_e32 v7, vcc, v7, v11, vcc
	v_and_or_b32 v12, v8, s44, v16
	v_add_co_u32_e32 v8, vcc, s8, v8
	v_addc_co_u32_e32 v9, vcc, 0, v9, vcc
	v_ashrrev_i32_e32 v13, 31, v12
	v_cmp_le_i64_e32 vcc, s[28:29], v[8:9]
	v_lshlrev_b64 v[12:13], 1, v[12:13]
	s_or_b64 s[38:39], vcc, s[38:39]
	v_add_co_u32_e32 v12, vcc, s45, v12
	v_addc_co_u32_e32 v13, vcc, v10, v13, vcc
	s_waitcnt vmcnt(0)
	v_and_b32_e32 v14, 15, v18
	v_lshrrev_b32_e32 v15, 4, v18
	v_cvt_f32_ubyte0_e32 v14, v14
	v_cvt_f32_ubyte0_e32 v15, v15
	v_fma_mixlo_f16 v14, v17, v14, v17 op_sel:[0,0,1] op_sel_hi:[1,0,1]
	v_fma_mixlo_f16 v15, v17, v15, v17 op_sel:[0,0,1] op_sel_hi:[1,0,1]
	global_store_short v[12:13], v14, off
	global_store_short v[12:13], v15, off offset:32
	s_andn2_b64 exec, exec, s[38:39]
	s_cbranch_execnz .LBB26_5
	s_branch .LBB26_2
.LBB26_6:
	s_endpgm
	.section	.rodata,"a",@progbits
	.p2align	6, 0x0
	.amdhsa_kernel _ZL10k_get_rowsILi32ELi2EXadL_ZL15dequantize_q4_1PKvliR15HIP_vector_typeIfLj2EEEE6__halfEvS1_PKiPT2_llS2_IjLj3EEmmmmmmmmm
		.amdhsa_group_segment_fixed_size 0
		.amdhsa_private_segment_fixed_size 0
		.amdhsa_kernarg_size 384
		.amdhsa_user_sgpr_count 6
		.amdhsa_user_sgpr_private_segment_buffer 1
		.amdhsa_user_sgpr_dispatch_ptr 0
		.amdhsa_user_sgpr_queue_ptr 0
		.amdhsa_user_sgpr_kernarg_segment_ptr 1
		.amdhsa_user_sgpr_dispatch_id 0
		.amdhsa_user_sgpr_flat_scratch_init 0
		.amdhsa_user_sgpr_private_segment_size 0
		.amdhsa_uses_dynamic_stack 0
		.amdhsa_system_sgpr_private_segment_wavefront_offset 0
		.amdhsa_system_sgpr_workgroup_id_x 1
		.amdhsa_system_sgpr_workgroup_id_y 1
		.amdhsa_system_sgpr_workgroup_id_z 1
		.amdhsa_system_sgpr_workgroup_info 0
		.amdhsa_system_vgpr_workitem_id 0
		.amdhsa_next_free_vgpr 19
		.amdhsa_next_free_sgpr 48
		.amdhsa_reserve_vcc 1
		.amdhsa_reserve_flat_scratch 0
		.amdhsa_float_round_mode_32 0
		.amdhsa_float_round_mode_16_64 0
		.amdhsa_float_denorm_mode_32 3
		.amdhsa_float_denorm_mode_16_64 3
		.amdhsa_dx10_clamp 1
		.amdhsa_ieee_mode 1
		.amdhsa_fp16_overflow 0
		.amdhsa_exception_fp_ieee_invalid_op 0
		.amdhsa_exception_fp_denorm_src 0
		.amdhsa_exception_fp_ieee_div_zero 0
		.amdhsa_exception_fp_ieee_overflow 0
		.amdhsa_exception_fp_ieee_underflow 0
		.amdhsa_exception_fp_ieee_inexact 0
		.amdhsa_exception_int_div_zero 0
	.end_amdhsa_kernel
	.section	.text._ZL10k_get_rowsILi32ELi2EXadL_ZL15dequantize_q4_1PKvliR15HIP_vector_typeIfLj2EEEE6__halfEvS1_PKiPT2_llS2_IjLj3EEmmmmmmmmm,"axG",@progbits,_ZL10k_get_rowsILi32ELi2EXadL_ZL15dequantize_q4_1PKvliR15HIP_vector_typeIfLj2EEEE6__halfEvS1_PKiPT2_llS2_IjLj3EEmmmmmmmmm,comdat
.Lfunc_end26:
	.size	_ZL10k_get_rowsILi32ELi2EXadL_ZL15dequantize_q4_1PKvliR15HIP_vector_typeIfLj2EEEE6__halfEvS1_PKiPT2_llS2_IjLj3EEmmmmmmmmm, .Lfunc_end26-_ZL10k_get_rowsILi32ELi2EXadL_ZL15dequantize_q4_1PKvliR15HIP_vector_typeIfLj2EEEE6__halfEvS1_PKiPT2_llS2_IjLj3EEmmmmmmmmm
                                        ; -- End function
	.set _ZL10k_get_rowsILi32ELi2EXadL_ZL15dequantize_q4_1PKvliR15HIP_vector_typeIfLj2EEEE6__halfEvS1_PKiPT2_llS2_IjLj3EEmmmmmmmmm.num_vgpr, 19
	.set _ZL10k_get_rowsILi32ELi2EXadL_ZL15dequantize_q4_1PKvliR15HIP_vector_typeIfLj2EEEE6__halfEvS1_PKiPT2_llS2_IjLj3EEmmmmmmmmm.num_agpr, 0
	.set _ZL10k_get_rowsILi32ELi2EXadL_ZL15dequantize_q4_1PKvliR15HIP_vector_typeIfLj2EEEE6__halfEvS1_PKiPT2_llS2_IjLj3EEmmmmmmmmm.numbered_sgpr, 48
	.set _ZL10k_get_rowsILi32ELi2EXadL_ZL15dequantize_q4_1PKvliR15HIP_vector_typeIfLj2EEEE6__halfEvS1_PKiPT2_llS2_IjLj3EEmmmmmmmmm.num_named_barrier, 0
	.set _ZL10k_get_rowsILi32ELi2EXadL_ZL15dequantize_q4_1PKvliR15HIP_vector_typeIfLj2EEEE6__halfEvS1_PKiPT2_llS2_IjLj3EEmmmmmmmmm.private_seg_size, 0
	.set _ZL10k_get_rowsILi32ELi2EXadL_ZL15dequantize_q4_1PKvliR15HIP_vector_typeIfLj2EEEE6__halfEvS1_PKiPT2_llS2_IjLj3EEmmmmmmmmm.uses_vcc, 1
	.set _ZL10k_get_rowsILi32ELi2EXadL_ZL15dequantize_q4_1PKvliR15HIP_vector_typeIfLj2EEEE6__halfEvS1_PKiPT2_llS2_IjLj3EEmmmmmmmmm.uses_flat_scratch, 0
	.set _ZL10k_get_rowsILi32ELi2EXadL_ZL15dequantize_q4_1PKvliR15HIP_vector_typeIfLj2EEEE6__halfEvS1_PKiPT2_llS2_IjLj3EEmmmmmmmmm.has_dyn_sized_stack, 0
	.set _ZL10k_get_rowsILi32ELi2EXadL_ZL15dequantize_q4_1PKvliR15HIP_vector_typeIfLj2EEEE6__halfEvS1_PKiPT2_llS2_IjLj3EEmmmmmmmmm.has_recursion, 0
	.set _ZL10k_get_rowsILi32ELi2EXadL_ZL15dequantize_q4_1PKvliR15HIP_vector_typeIfLj2EEEE6__halfEvS1_PKiPT2_llS2_IjLj3EEmmmmmmmmm.has_indirect_call, 0
	.section	.AMDGPU.csdata,"",@progbits
; Kernel info:
; codeLenInByte = 776
; TotalNumSgprs: 52
; NumVgprs: 19
; ScratchSize: 0
; MemoryBound: 0
; FloatMode: 240
; IeeeMode: 1
; LDSByteSize: 0 bytes/workgroup (compile time only)
; SGPRBlocks: 6
; VGPRBlocks: 4
; NumSGPRsForWavesPerEU: 52
; NumVGPRsForWavesPerEU: 19
; Occupancy: 10
; WaveLimiterHint : 1
; COMPUTE_PGM_RSRC2:SCRATCH_EN: 0
; COMPUTE_PGM_RSRC2:USER_SGPR: 6
; COMPUTE_PGM_RSRC2:TRAP_HANDLER: 0
; COMPUTE_PGM_RSRC2:TGID_X_EN: 1
; COMPUTE_PGM_RSRC2:TGID_Y_EN: 1
; COMPUTE_PGM_RSRC2:TGID_Z_EN: 1
; COMPUTE_PGM_RSRC2:TIDIG_COMP_CNT: 0
	.section	.text._ZL10k_get_rowsILi32ELi2EXadL_ZL15dequantize_q5_0PKvliR15HIP_vector_typeIfLj2EEEE6__halfEvS1_PKiPT2_llS2_IjLj3EEmmmmmmmmm,"axG",@progbits,_ZL10k_get_rowsILi32ELi2EXadL_ZL15dequantize_q5_0PKvliR15HIP_vector_typeIfLj2EEEE6__halfEvS1_PKiPT2_llS2_IjLj3EEmmmmmmmmm,comdat
	.globl	_ZL10k_get_rowsILi32ELi2EXadL_ZL15dequantize_q5_0PKvliR15HIP_vector_typeIfLj2EEEE6__halfEvS1_PKiPT2_llS2_IjLj3EEmmmmmmmmm ; -- Begin function _ZL10k_get_rowsILi32ELi2EXadL_ZL15dequantize_q5_0PKvliR15HIP_vector_typeIfLj2EEEE6__halfEvS1_PKiPT2_llS2_IjLj3EEmmmmmmmmm
	.p2align	8
	.type	_ZL10k_get_rowsILi32ELi2EXadL_ZL15dequantize_q5_0PKvliR15HIP_vector_typeIfLj2EEEE6__halfEvS1_PKiPT2_llS2_IjLj3EEmmmmmmmmm,@function
_ZL10k_get_rowsILi32ELi2EXadL_ZL15dequantize_q5_0PKvliR15HIP_vector_typeIfLj2EEEE6__halfEvS1_PKiPT2_llS2_IjLj3EEmmmmmmmmm: ; @_ZL10k_get_rowsILi32ELi2EXadL_ZL15dequantize_q5_0PKvliR15HIP_vector_typeIfLj2EEEE6__halfEvS1_PKiPT2_llS2_IjLj3EEmmmmmmmmm
; %bb.0:
	s_load_dwordx4 s[28:31], s[4:5], 0x18
	s_load_dwordx2 s[2:3], s[4:5], 0x2c
	s_mov_b32 s9, 0
	v_mov_b32_e32 v1, s8
	v_mov_b32_e32 v2, s9
	s_waitcnt lgkmcnt(0)
	s_mul_i32 s0, s31, s3
	s_mul_hi_u32 s1, s30, s3
	s_add_i32 s35, s1, s0
	s_mul_i32 s34, s30, s3
	v_cmp_le_i64_e32 vcc, s[34:35], v[1:2]
	s_cbranch_vccnz .LBB27_6
; %bb.1:
	s_load_dwordx4 s[36:39], s[4:5], 0x0
	s_load_dwordx2 s[42:43], s[4:5], 0x10
	s_load_dwordx2 s[10:11], s[4:5], 0x78
	;; [unrolled: 1-line block ×3, first 2 shown]
	s_load_dword s33, s[4:5], 0x28
	s_load_dwordx16 s[12:27], s[4:5], 0x38
	s_add_u32 s4, s4, 0x80
	s_addc_u32 s5, s5, 0
	s_waitcnt lgkmcnt(0)
	s_and_b32 s31, s31, 0xffff
	s_mul_i32 s7, s7, s31
	v_add_lshl_u32 v0, s7, v0, 1
	s_ashr_i32 s7, s6, 31
	s_mul_hi_u32 s40, s24, s6
	s_mul_i32 s41, s24, s7
	s_add_i32 s40, s40, s41
	s_mul_i32 s25, s25, s6
	s_add_i32 s25, s40, s25
	s_mul_i32 s24, s24, s6
	s_lshl_b64 s[24:25], s[24:25], 2
	s_add_u32 s40, s38, s24
	s_mul_hi_u32 s24, s12, s6
	s_mul_i32 s7, s12, s7
	s_addc_u32 s41, s39, s25
	s_add_i32 s7, s24, s7
	s_mul_i32 s13, s13, s6
	s_add_i32 s7, s7, s13
	s_mul_i32 s6, s12, s6
	v_mov_b32_e32 v1, 0
	s_lshl_b64 s[6:7], s[6:7], 1
	v_cmp_gt_i64_e64 s[0:1], s[28:29], v[0:1]
	s_add_u32 s42, s42, s6
	v_lshlrev_b64 v[2:3], 27, v[0:1]
	v_mov_b32_e32 v4, s34
	s_addc_u32 s43, s43, s7
	s_mov_b32 s44, 0x1000706
	s_movk_i32 s45, 0xffe0
	v_mov_b32_e32 v5, s35
	s_mov_b64 s[6:7], s[8:9]
	s_branch .LBB27_3
.LBB27_2:                               ;   in Loop: Header=BB27_3 Depth=1
	s_or_b64 exec, exec, s[12:13]
	s_add_u32 s6, s6, s30
	s_addc_u32 s7, s7, 0
	v_cmp_ge_i64_e32 vcc, s[6:7], v[4:5]
	s_cbranch_vccnz .LBB27_6
.LBB27_3:                               ; =>This Loop Header: Depth=1
                                        ;     Child Loop BB27_5 Depth 2
	s_and_saveexec_b64 s[12:13], s[0:1]
	s_cbranch_execz .LBB27_2
; %bb.4:                                ;   in Loop: Header=BB27_3 Depth=1
	s_mul_hi_u32 s8, s6, s33
	s_add_i32 s8, s8, s6
	s_lshr_b32 s8, s8, s2
	s_mul_i32 s24, s8, s3
	s_sub_i32 s38, s6, s24
	s_ashr_i32 s39, s8, 31
	s_mul_i32 s24, s26, s39
	s_mul_hi_u32 s25, s26, s8
	s_ashr_i32 s47, s38, 31
	s_add_i32 s24, s25, s24
	s_mul_i32 s25, s27, s8
	s_mul_i32 s34, s10, s47
	s_mul_hi_u32 s35, s10, s38
	s_add_i32 s25, s24, s25
	s_mul_i32 s24, s26, s8
	s_add_i32 s34, s35, s34
	s_mul_i32 s35, s11, s38
	s_add_i32 s35, s34, s35
	s_lshl_b64 s[24:25], s[24:25], 2
	s_mul_i32 s34, s10, s38
	s_add_u32 s46, s40, s24
	s_addc_u32 s48, s41, s25
	s_lshl_b64 s[24:25], s[34:35], 2
	s_add_u32 s24, s46, s24
	s_addc_u32 s25, s48, s25
	s_load_dword s34, s[24:25], 0x0
	s_mul_i32 s24, s14, s39
	s_mul_hi_u32 s25, s14, s8
	s_add_i32 s24, s25, s24
	s_mul_i32 s25, s15, s8
	s_add_i32 s25, s24, s25
	s_mul_i32 s24, s14, s8
	s_waitcnt lgkmcnt(0)
	s_ashr_i32 s35, s34, 31
	s_lshl_b64 s[24:25], s[24:25], 1
	s_add_u32 s46, s42, s24
	s_addc_u32 s48, s43, s25
	s_mul_i32 s24, s16, s47
	s_mul_hi_u32 s25, s16, s38
	s_add_i32 s24, s25, s24
	s_mul_i32 s25, s17, s38
	s_add_i32 s25, s24, s25
	s_mul_i32 s24, s16, s38
	s_lshl_b64 s[24:25], s[24:25], 1
	s_add_u32 s46, s46, s24
	s_addc_u32 s48, s48, s25
	s_mul_i32 s24, s18, s35
	s_mul_hi_u32 s25, s18, s34
	s_add_i32 s24, s25, s24
	s_mul_i32 s25, s19, s34
	s_add_i32 s24, s24, s25
	s_mul_i32 s25, s18, s34
	s_add_u32 s25, s36, s25
	s_mul_i32 s34, s20, s39
	s_mul_hi_u32 s35, s20, s8
	s_addc_u32 s24, s37, s24
	s_add_i32 s34, s35, s34
	s_mul_i32 s35, s21, s8
	s_add_i32 s34, s34, s35
	s_mul_i32 s8, s20, s8
	s_load_dword s35, s[4:5], 0x4
	s_add_u32 s8, s25, s8
	s_addc_u32 s25, s24, s34
	s_mul_i32 s24, s22, s47
	s_mul_hi_u32 s34, s22, s38
	s_add_i32 s24, s34, s24
	s_mul_i32 s34, s23, s38
	s_add_i32 s34, s24, s34
	s_mul_i32 s24, s22, s38
	s_add_u32 s24, s8, s24
	s_waitcnt lgkmcnt(0)
	s_mul_i32 s8, s35, s31
	s_addc_u32 s25, s25, s34
	s_lshl_b64 s[34:35], s[8:9], 27
	v_mov_b32_e32 v7, v3
	v_mov_b32_e32 v9, v1
	s_mov_b64 s[38:39], 0
	v_mov_b32_e32 v10, s48
	v_mov_b32_e32 v11, s35
	;; [unrolled: 1-line block ×4, first 2 shown]
.LBB27_5:                               ;   Parent Loop BB27_3 Depth=1
                                        ; =>  This Inner Loop Header: Depth=2
	v_mad_i64_i32 v[12:13], s[48:49], v7, 22, s[24:25]
	v_bfe_u32 v14, v8, 1, 4
	v_add_u32_e32 v18, 12, v14
	global_load_dword v15, v[12:13], off
	global_load_ushort v16, v[12:13], off offset:4
	v_add_co_u32_e32 v12, vcc, v12, v14
	v_addc_co_u32_e32 v13, vcc, 0, v13, vcc
	global_load_ubyte v17, v[12:13], off offset:6
	v_add_co_u32_e32 v6, vcc, s34, v6
	v_and_or_b32 v12, v8, s45, v14
	v_addc_co_u32_e32 v7, vcc, v7, v11, vcc
	v_add_co_u32_e32 v8, vcc, s8, v8
	v_addc_co_u32_e32 v9, vcc, 0, v9, vcc
	v_ashrrev_i32_e32 v13, 31, v12
	v_cmp_le_i64_e32 vcc, s[28:29], v[8:9]
	v_lshlrev_b64 v[12:13], 1, v[12:13]
	s_or_b64 s[38:39], vcc, s[38:39]
	v_add_co_u32_e32 v12, vcc, s46, v12
	v_addc_co_u32_e32 v13, vcc, v10, v13, vcc
	s_waitcnt vmcnt(1)
	v_perm_b32 v16, v15, v16, s44
	v_lshrrev_b32_e32 v14, v14, v16
	v_lshrrev_b32_e32 v16, v18, v16
	v_lshlrev_b32_e32 v14, 4, v14
	v_and_b32_e32 v16, 16, v16
	s_waitcnt vmcnt(0)
	v_lshrrev_b16_e32 v18, 4, v17
	v_or_b32_e32 v18, -16, v18
	v_or_b32_e32 v17, -16, v17
	v_and_b32_e32 v14, 16, v14
	v_add_u32_sdwa v16, v16, sext(v18) dst_sel:DWORD dst_unused:UNUSED_PAD src0_sel:DWORD src1_sel:WORD_0
	v_add_u32_e32 v14, v17, v14
	v_cvt_f32_i32_e32 v16, v16
	v_cvt_f32_i32_e32 v14, v14
	v_fma_mixlo_f16 v16, v15, v16, 0 op_sel_hi:[1,0,0]
	v_fma_mixlo_f16 v14, v15, v14, 0 op_sel_hi:[1,0,0]
	global_store_short v[12:13], v16, off offset:32
	global_store_short v[12:13], v14, off
	s_andn2_b64 exec, exec, s[38:39]
	s_cbranch_execnz .LBB27_5
	s_branch .LBB27_2
.LBB27_6:
	s_endpgm
	.section	.rodata,"a",@progbits
	.p2align	6, 0x0
	.amdhsa_kernel _ZL10k_get_rowsILi32ELi2EXadL_ZL15dequantize_q5_0PKvliR15HIP_vector_typeIfLj2EEEE6__halfEvS1_PKiPT2_llS2_IjLj3EEmmmmmmmmm
		.amdhsa_group_segment_fixed_size 0
		.amdhsa_private_segment_fixed_size 0
		.amdhsa_kernarg_size 384
		.amdhsa_user_sgpr_count 6
		.amdhsa_user_sgpr_private_segment_buffer 1
		.amdhsa_user_sgpr_dispatch_ptr 0
		.amdhsa_user_sgpr_queue_ptr 0
		.amdhsa_user_sgpr_kernarg_segment_ptr 1
		.amdhsa_user_sgpr_dispatch_id 0
		.amdhsa_user_sgpr_flat_scratch_init 0
		.amdhsa_user_sgpr_private_segment_size 0
		.amdhsa_uses_dynamic_stack 0
		.amdhsa_system_sgpr_private_segment_wavefront_offset 0
		.amdhsa_system_sgpr_workgroup_id_x 1
		.amdhsa_system_sgpr_workgroup_id_y 1
		.amdhsa_system_sgpr_workgroup_id_z 1
		.amdhsa_system_sgpr_workgroup_info 0
		.amdhsa_system_vgpr_workitem_id 0
		.amdhsa_next_free_vgpr 19
		.amdhsa_next_free_sgpr 50
		.amdhsa_reserve_vcc 1
		.amdhsa_reserve_flat_scratch 0
		.amdhsa_float_round_mode_32 0
		.amdhsa_float_round_mode_16_64 0
		.amdhsa_float_denorm_mode_32 3
		.amdhsa_float_denorm_mode_16_64 3
		.amdhsa_dx10_clamp 1
		.amdhsa_ieee_mode 1
		.amdhsa_fp16_overflow 0
		.amdhsa_exception_fp_ieee_invalid_op 0
		.amdhsa_exception_fp_denorm_src 0
		.amdhsa_exception_fp_ieee_div_zero 0
		.amdhsa_exception_fp_ieee_overflow 0
		.amdhsa_exception_fp_ieee_underflow 0
		.amdhsa_exception_fp_ieee_inexact 0
		.amdhsa_exception_int_div_zero 0
	.end_amdhsa_kernel
	.section	.text._ZL10k_get_rowsILi32ELi2EXadL_ZL15dequantize_q5_0PKvliR15HIP_vector_typeIfLj2EEEE6__halfEvS1_PKiPT2_llS2_IjLj3EEmmmmmmmmm,"axG",@progbits,_ZL10k_get_rowsILi32ELi2EXadL_ZL15dequantize_q5_0PKvliR15HIP_vector_typeIfLj2EEEE6__halfEvS1_PKiPT2_llS2_IjLj3EEmmmmmmmmm,comdat
.Lfunc_end27:
	.size	_ZL10k_get_rowsILi32ELi2EXadL_ZL15dequantize_q5_0PKvliR15HIP_vector_typeIfLj2EEEE6__halfEvS1_PKiPT2_llS2_IjLj3EEmmmmmmmmm, .Lfunc_end27-_ZL10k_get_rowsILi32ELi2EXadL_ZL15dequantize_q5_0PKvliR15HIP_vector_typeIfLj2EEEE6__halfEvS1_PKiPT2_llS2_IjLj3EEmmmmmmmmm
                                        ; -- End function
	.set _ZL10k_get_rowsILi32ELi2EXadL_ZL15dequantize_q5_0PKvliR15HIP_vector_typeIfLj2EEEE6__halfEvS1_PKiPT2_llS2_IjLj3EEmmmmmmmmm.num_vgpr, 19
	.set _ZL10k_get_rowsILi32ELi2EXadL_ZL15dequantize_q5_0PKvliR15HIP_vector_typeIfLj2EEEE6__halfEvS1_PKiPT2_llS2_IjLj3EEmmmmmmmmm.num_agpr, 0
	.set _ZL10k_get_rowsILi32ELi2EXadL_ZL15dequantize_q5_0PKvliR15HIP_vector_typeIfLj2EEEE6__halfEvS1_PKiPT2_llS2_IjLj3EEmmmmmmmmm.numbered_sgpr, 50
	.set _ZL10k_get_rowsILi32ELi2EXadL_ZL15dequantize_q5_0PKvliR15HIP_vector_typeIfLj2EEEE6__halfEvS1_PKiPT2_llS2_IjLj3EEmmmmmmmmm.num_named_barrier, 0
	.set _ZL10k_get_rowsILi32ELi2EXadL_ZL15dequantize_q5_0PKvliR15HIP_vector_typeIfLj2EEEE6__halfEvS1_PKiPT2_llS2_IjLj3EEmmmmmmmmm.private_seg_size, 0
	.set _ZL10k_get_rowsILi32ELi2EXadL_ZL15dequantize_q5_0PKvliR15HIP_vector_typeIfLj2EEEE6__halfEvS1_PKiPT2_llS2_IjLj3EEmmmmmmmmm.uses_vcc, 1
	.set _ZL10k_get_rowsILi32ELi2EXadL_ZL15dequantize_q5_0PKvliR15HIP_vector_typeIfLj2EEEE6__halfEvS1_PKiPT2_llS2_IjLj3EEmmmmmmmmm.uses_flat_scratch, 0
	.set _ZL10k_get_rowsILi32ELi2EXadL_ZL15dequantize_q5_0PKvliR15HIP_vector_typeIfLj2EEEE6__halfEvS1_PKiPT2_llS2_IjLj3EEmmmmmmmmm.has_dyn_sized_stack, 0
	.set _ZL10k_get_rowsILi32ELi2EXadL_ZL15dequantize_q5_0PKvliR15HIP_vector_typeIfLj2EEEE6__halfEvS1_PKiPT2_llS2_IjLj3EEmmmmmmmmm.has_recursion, 0
	.set _ZL10k_get_rowsILi32ELi2EXadL_ZL15dequantize_q5_0PKvliR15HIP_vector_typeIfLj2EEEE6__halfEvS1_PKiPT2_llS2_IjLj3EEmmmmmmmmm.has_indirect_call, 0
	.section	.AMDGPU.csdata,"",@progbits
; Kernel info:
; codeLenInByte = 844
; TotalNumSgprs: 54
; NumVgprs: 19
; ScratchSize: 0
; MemoryBound: 0
; FloatMode: 240
; IeeeMode: 1
; LDSByteSize: 0 bytes/workgroup (compile time only)
; SGPRBlocks: 6
; VGPRBlocks: 4
; NumSGPRsForWavesPerEU: 54
; NumVGPRsForWavesPerEU: 19
; Occupancy: 10
; WaveLimiterHint : 1
; COMPUTE_PGM_RSRC2:SCRATCH_EN: 0
; COMPUTE_PGM_RSRC2:USER_SGPR: 6
; COMPUTE_PGM_RSRC2:TRAP_HANDLER: 0
; COMPUTE_PGM_RSRC2:TGID_X_EN: 1
; COMPUTE_PGM_RSRC2:TGID_Y_EN: 1
; COMPUTE_PGM_RSRC2:TGID_Z_EN: 1
; COMPUTE_PGM_RSRC2:TIDIG_COMP_CNT: 0
	.section	.text._ZL10k_get_rowsILi32ELi2EXadL_ZL15dequantize_q5_1PKvliR15HIP_vector_typeIfLj2EEEE6__halfEvS1_PKiPT2_llS2_IjLj3EEmmmmmmmmm,"axG",@progbits,_ZL10k_get_rowsILi32ELi2EXadL_ZL15dequantize_q5_1PKvliR15HIP_vector_typeIfLj2EEEE6__halfEvS1_PKiPT2_llS2_IjLj3EEmmmmmmmmm,comdat
	.globl	_ZL10k_get_rowsILi32ELi2EXadL_ZL15dequantize_q5_1PKvliR15HIP_vector_typeIfLj2EEEE6__halfEvS1_PKiPT2_llS2_IjLj3EEmmmmmmmmm ; -- Begin function _ZL10k_get_rowsILi32ELi2EXadL_ZL15dequantize_q5_1PKvliR15HIP_vector_typeIfLj2EEEE6__halfEvS1_PKiPT2_llS2_IjLj3EEmmmmmmmmm
	.p2align	8
	.type	_ZL10k_get_rowsILi32ELi2EXadL_ZL15dequantize_q5_1PKvliR15HIP_vector_typeIfLj2EEEE6__halfEvS1_PKiPT2_llS2_IjLj3EEmmmmmmmmm,@function
_ZL10k_get_rowsILi32ELi2EXadL_ZL15dequantize_q5_1PKvliR15HIP_vector_typeIfLj2EEEE6__halfEvS1_PKiPT2_llS2_IjLj3EEmmmmmmmmm: ; @_ZL10k_get_rowsILi32ELi2EXadL_ZL15dequantize_q5_1PKvliR15HIP_vector_typeIfLj2EEEE6__halfEvS1_PKiPT2_llS2_IjLj3EEmmmmmmmmm
; %bb.0:
	s_load_dwordx4 s[28:31], s[4:5], 0x18
	s_load_dwordx2 s[2:3], s[4:5], 0x2c
	s_mov_b32 s9, 0
	v_mov_b32_e32 v1, s8
	v_mov_b32_e32 v2, s9
	s_waitcnt lgkmcnt(0)
	s_mul_i32 s0, s31, s3
	s_mul_hi_u32 s1, s30, s3
	s_add_i32 s35, s1, s0
	s_mul_i32 s34, s30, s3
	v_cmp_le_i64_e32 vcc, s[34:35], v[1:2]
	s_cbranch_vccnz .LBB28_6
; %bb.1:
	s_load_dwordx4 s[36:39], s[4:5], 0x0
	s_load_dwordx2 s[42:43], s[4:5], 0x10
	s_load_dwordx2 s[10:11], s[4:5], 0x78
	;; [unrolled: 1-line block ×3, first 2 shown]
	s_load_dword s33, s[4:5], 0x28
	s_load_dwordx16 s[12:27], s[4:5], 0x38
	s_add_u32 s4, s4, 0x80
	s_addc_u32 s5, s5, 0
	s_waitcnt lgkmcnt(0)
	s_and_b32 s31, s31, 0xffff
	s_mul_i32 s7, s7, s31
	v_add_lshl_u32 v0, s7, v0, 1
	s_ashr_i32 s7, s6, 31
	s_mul_hi_u32 s40, s24, s6
	s_mul_i32 s41, s24, s7
	s_add_i32 s40, s40, s41
	s_mul_i32 s25, s25, s6
	s_add_i32 s25, s40, s25
	s_mul_i32 s24, s24, s6
	s_lshl_b64 s[24:25], s[24:25], 2
	s_add_u32 s40, s38, s24
	s_mul_hi_u32 s24, s12, s6
	s_mul_i32 s7, s12, s7
	s_addc_u32 s41, s39, s25
	s_add_i32 s7, s24, s7
	s_mul_i32 s13, s13, s6
	s_add_i32 s7, s7, s13
	s_mul_i32 s6, s12, s6
	v_mov_b32_e32 v1, 0
	s_lshl_b64 s[6:7], s[6:7], 1
	v_cmp_gt_i64_e64 s[0:1], s[28:29], v[0:1]
	s_add_u32 s42, s42, s6
	v_lshlrev_b64 v[2:3], 27, v[0:1]
	v_mov_b32_e32 v4, s34
	s_addc_u32 s43, s43, s7
	s_movk_i32 s44, 0xffe0
	v_mov_b32_e32 v5, s35
	s_mov_b64 s[6:7], s[8:9]
	s_branch .LBB28_3
.LBB28_2:                               ;   in Loop: Header=BB28_3 Depth=1
	s_or_b64 exec, exec, s[12:13]
	s_add_u32 s6, s6, s30
	s_addc_u32 s7, s7, 0
	v_cmp_ge_i64_e32 vcc, s[6:7], v[4:5]
	s_cbranch_vccnz .LBB28_6
.LBB28_3:                               ; =>This Loop Header: Depth=1
                                        ;     Child Loop BB28_5 Depth 2
	s_and_saveexec_b64 s[12:13], s[0:1]
	s_cbranch_execz .LBB28_2
; %bb.4:                                ;   in Loop: Header=BB28_3 Depth=1
	s_mul_hi_u32 s8, s6, s33
	s_add_i32 s8, s8, s6
	s_lshr_b32 s8, s8, s2
	s_mul_i32 s24, s8, s3
	s_sub_i32 s38, s6, s24
	s_ashr_i32 s39, s8, 31
	s_mul_i32 s24, s26, s39
	s_mul_hi_u32 s25, s26, s8
	s_ashr_i32 s46, s38, 31
	s_add_i32 s24, s25, s24
	s_mul_i32 s25, s27, s8
	s_mul_i32 s34, s10, s46
	s_mul_hi_u32 s35, s10, s38
	s_add_i32 s25, s24, s25
	s_mul_i32 s24, s26, s8
	s_add_i32 s34, s35, s34
	s_mul_i32 s35, s11, s38
	s_add_i32 s35, s34, s35
	s_lshl_b64 s[24:25], s[24:25], 2
	s_mul_i32 s34, s10, s38
	s_add_u32 s45, s40, s24
	s_addc_u32 s47, s41, s25
	s_lshl_b64 s[24:25], s[34:35], 2
	s_add_u32 s24, s45, s24
	s_addc_u32 s25, s47, s25
	s_load_dword s34, s[24:25], 0x0
	s_mul_i32 s24, s14, s39
	s_mul_hi_u32 s25, s14, s8
	s_add_i32 s24, s25, s24
	s_mul_i32 s25, s15, s8
	s_add_i32 s25, s24, s25
	s_mul_i32 s24, s14, s8
	s_waitcnt lgkmcnt(0)
	s_ashr_i32 s35, s34, 31
	s_lshl_b64 s[24:25], s[24:25], 1
	s_add_u32 s45, s42, s24
	s_addc_u32 s47, s43, s25
	s_mul_i32 s24, s16, s46
	s_mul_hi_u32 s25, s16, s38
	s_add_i32 s24, s25, s24
	s_mul_i32 s25, s17, s38
	s_add_i32 s25, s24, s25
	s_mul_i32 s24, s16, s38
	s_lshl_b64 s[24:25], s[24:25], 1
	s_add_u32 s45, s45, s24
	s_addc_u32 s47, s47, s25
	s_mul_i32 s24, s18, s35
	s_mul_hi_u32 s25, s18, s34
	s_add_i32 s24, s25, s24
	s_mul_i32 s25, s19, s34
	s_add_i32 s24, s24, s25
	s_mul_i32 s25, s18, s34
	s_add_u32 s25, s36, s25
	s_mul_i32 s34, s20, s39
	s_mul_hi_u32 s35, s20, s8
	s_addc_u32 s24, s37, s24
	s_add_i32 s34, s35, s34
	s_mul_i32 s35, s21, s8
	s_add_i32 s34, s34, s35
	s_mul_i32 s8, s20, s8
	s_load_dword s35, s[4:5], 0x4
	s_add_u32 s8, s25, s8
	s_addc_u32 s25, s24, s34
	s_mul_i32 s24, s22, s46
	s_mul_hi_u32 s34, s22, s38
	s_add_i32 s24, s34, s24
	s_mul_i32 s34, s23, s38
	s_add_i32 s34, s24, s34
	s_mul_i32 s24, s22, s38
	s_add_u32 s24, s8, s24
	s_waitcnt lgkmcnt(0)
	s_mul_i32 s8, s35, s31
	s_addc_u32 s25, s25, s34
	s_lshl_b64 s[34:35], s[8:9], 27
	v_mov_b32_e32 v7, v3
	v_mov_b32_e32 v9, v1
	s_mov_b64 s[38:39], 0
	v_mov_b32_e32 v10, s47
	v_mov_b32_e32 v11, s35
	v_mov_b32_e32 v6, v2
	v_mov_b32_e32 v8, v0
.LBB28_5:                               ;   Parent Loop BB28_3 Depth=1
                                        ; =>  This Inner Loop Header: Depth=2
	v_mad_i64_i32 v[12:13], s[46:47], v7, 24, s[24:25]
	v_bfe_u32 v16, v8, 1, 4
	v_add_u32_e32 v18, 12, v16
	global_load_dwordx2 v[14:15], v[12:13], off
	v_add_co_u32_e32 v12, vcc, v12, v16
	v_addc_co_u32_e32 v13, vcc, 0, v13, vcc
	global_load_ubyte v17, v[12:13], off offset:8
	v_add_co_u32_e32 v6, vcc, s34, v6
	v_addc_co_u32_e32 v7, vcc, v7, v11, vcc
	v_and_or_b32 v12, v8, s44, v16
	v_add_co_u32_e32 v8, vcc, s8, v8
	v_addc_co_u32_e32 v9, vcc, 0, v9, vcc
	v_ashrrev_i32_e32 v13, 31, v12
	v_cmp_le_i64_e32 vcc, s[28:29], v[8:9]
	v_lshlrev_b64 v[12:13], 1, v[12:13]
	s_or_b64 s[38:39], vcc, s[38:39]
	v_add_co_u32_e32 v12, vcc, s45, v12
	v_addc_co_u32_e32 v13, vcc, v10, v13, vcc
	s_waitcnt vmcnt(1)
	v_lshrrev_b32_e32 v16, v16, v15
	v_lshrrev_b32_e32 v15, v18, v15
	v_lshlrev_b32_e32 v16, 4, v16
	s_waitcnt vmcnt(0)
	v_and_b32_e32 v18, 15, v17
	v_lshrrev_b16_e32 v17, 4, v17
	v_and_or_b32 v16, v16, 16, v18
	v_and_or_b32 v15, v15, 16, v17
	v_cvt_f32_ubyte0_e32 v16, v16
	v_cvt_f32_ubyte0_e32 v15, v15
	v_fma_mixlo_f16 v16, v14, v16, v14 op_sel:[0,0,1] op_sel_hi:[1,0,1]
	v_fma_mixlo_f16 v14, v14, v15, v14 op_sel:[0,0,1] op_sel_hi:[1,0,1]
	global_store_short v[12:13], v16, off
	global_store_short v[12:13], v14, off offset:32
	s_andn2_b64 exec, exec, s[38:39]
	s_cbranch_execnz .LBB28_5
	s_branch .LBB28_2
.LBB28_6:
	s_endpgm
	.section	.rodata,"a",@progbits
	.p2align	6, 0x0
	.amdhsa_kernel _ZL10k_get_rowsILi32ELi2EXadL_ZL15dequantize_q5_1PKvliR15HIP_vector_typeIfLj2EEEE6__halfEvS1_PKiPT2_llS2_IjLj3EEmmmmmmmmm
		.amdhsa_group_segment_fixed_size 0
		.amdhsa_private_segment_fixed_size 0
		.amdhsa_kernarg_size 384
		.amdhsa_user_sgpr_count 6
		.amdhsa_user_sgpr_private_segment_buffer 1
		.amdhsa_user_sgpr_dispatch_ptr 0
		.amdhsa_user_sgpr_queue_ptr 0
		.amdhsa_user_sgpr_kernarg_segment_ptr 1
		.amdhsa_user_sgpr_dispatch_id 0
		.amdhsa_user_sgpr_flat_scratch_init 0
		.amdhsa_user_sgpr_private_segment_size 0
		.amdhsa_uses_dynamic_stack 0
		.amdhsa_system_sgpr_private_segment_wavefront_offset 0
		.amdhsa_system_sgpr_workgroup_id_x 1
		.amdhsa_system_sgpr_workgroup_id_y 1
		.amdhsa_system_sgpr_workgroup_id_z 1
		.amdhsa_system_sgpr_workgroup_info 0
		.amdhsa_system_vgpr_workitem_id 0
		.amdhsa_next_free_vgpr 19
		.amdhsa_next_free_sgpr 48
		.amdhsa_reserve_vcc 1
		.amdhsa_reserve_flat_scratch 0
		.amdhsa_float_round_mode_32 0
		.amdhsa_float_round_mode_16_64 0
		.amdhsa_float_denorm_mode_32 3
		.amdhsa_float_denorm_mode_16_64 3
		.amdhsa_dx10_clamp 1
		.amdhsa_ieee_mode 1
		.amdhsa_fp16_overflow 0
		.amdhsa_exception_fp_ieee_invalid_op 0
		.amdhsa_exception_fp_denorm_src 0
		.amdhsa_exception_fp_ieee_div_zero 0
		.amdhsa_exception_fp_ieee_overflow 0
		.amdhsa_exception_fp_ieee_underflow 0
		.amdhsa_exception_fp_ieee_inexact 0
		.amdhsa_exception_int_div_zero 0
	.end_amdhsa_kernel
	.section	.text._ZL10k_get_rowsILi32ELi2EXadL_ZL15dequantize_q5_1PKvliR15HIP_vector_typeIfLj2EEEE6__halfEvS1_PKiPT2_llS2_IjLj3EEmmmmmmmmm,"axG",@progbits,_ZL10k_get_rowsILi32ELi2EXadL_ZL15dequantize_q5_1PKvliR15HIP_vector_typeIfLj2EEEE6__halfEvS1_PKiPT2_llS2_IjLj3EEmmmmmmmmm,comdat
.Lfunc_end28:
	.size	_ZL10k_get_rowsILi32ELi2EXadL_ZL15dequantize_q5_1PKvliR15HIP_vector_typeIfLj2EEEE6__halfEvS1_PKiPT2_llS2_IjLj3EEmmmmmmmmm, .Lfunc_end28-_ZL10k_get_rowsILi32ELi2EXadL_ZL15dequantize_q5_1PKvliR15HIP_vector_typeIfLj2EEEE6__halfEvS1_PKiPT2_llS2_IjLj3EEmmmmmmmmm
                                        ; -- End function
	.set _ZL10k_get_rowsILi32ELi2EXadL_ZL15dequantize_q5_1PKvliR15HIP_vector_typeIfLj2EEEE6__halfEvS1_PKiPT2_llS2_IjLj3EEmmmmmmmmm.num_vgpr, 19
	.set _ZL10k_get_rowsILi32ELi2EXadL_ZL15dequantize_q5_1PKvliR15HIP_vector_typeIfLj2EEEE6__halfEvS1_PKiPT2_llS2_IjLj3EEmmmmmmmmm.num_agpr, 0
	.set _ZL10k_get_rowsILi32ELi2EXadL_ZL15dequantize_q5_1PKvliR15HIP_vector_typeIfLj2EEEE6__halfEvS1_PKiPT2_llS2_IjLj3EEmmmmmmmmm.numbered_sgpr, 48
	.set _ZL10k_get_rowsILi32ELi2EXadL_ZL15dequantize_q5_1PKvliR15HIP_vector_typeIfLj2EEEE6__halfEvS1_PKiPT2_llS2_IjLj3EEmmmmmmmmm.num_named_barrier, 0
	.set _ZL10k_get_rowsILi32ELi2EXadL_ZL15dequantize_q5_1PKvliR15HIP_vector_typeIfLj2EEEE6__halfEvS1_PKiPT2_llS2_IjLj3EEmmmmmmmmm.private_seg_size, 0
	.set _ZL10k_get_rowsILi32ELi2EXadL_ZL15dequantize_q5_1PKvliR15HIP_vector_typeIfLj2EEEE6__halfEvS1_PKiPT2_llS2_IjLj3EEmmmmmmmmm.uses_vcc, 1
	.set _ZL10k_get_rowsILi32ELi2EXadL_ZL15dequantize_q5_1PKvliR15HIP_vector_typeIfLj2EEEE6__halfEvS1_PKiPT2_llS2_IjLj3EEmmmmmmmmm.uses_flat_scratch, 0
	.set _ZL10k_get_rowsILi32ELi2EXadL_ZL15dequantize_q5_1PKvliR15HIP_vector_typeIfLj2EEEE6__halfEvS1_PKiPT2_llS2_IjLj3EEmmmmmmmmm.has_dyn_sized_stack, 0
	.set _ZL10k_get_rowsILi32ELi2EXadL_ZL15dequantize_q5_1PKvliR15HIP_vector_typeIfLj2EEEE6__halfEvS1_PKiPT2_llS2_IjLj3EEmmmmmmmmm.has_recursion, 0
	.set _ZL10k_get_rowsILi32ELi2EXadL_ZL15dequantize_q5_1PKvliR15HIP_vector_typeIfLj2EEEE6__halfEvS1_PKiPT2_llS2_IjLj3EEmmmmmmmmm.has_indirect_call, 0
	.section	.AMDGPU.csdata,"",@progbits
; Kernel info:
; codeLenInByte = 812
; TotalNumSgprs: 52
; NumVgprs: 19
; ScratchSize: 0
; MemoryBound: 0
; FloatMode: 240
; IeeeMode: 1
; LDSByteSize: 0 bytes/workgroup (compile time only)
; SGPRBlocks: 6
; VGPRBlocks: 4
; NumSGPRsForWavesPerEU: 52
; NumVGPRsForWavesPerEU: 19
; Occupancy: 10
; WaveLimiterHint : 1
; COMPUTE_PGM_RSRC2:SCRATCH_EN: 0
; COMPUTE_PGM_RSRC2:USER_SGPR: 6
; COMPUTE_PGM_RSRC2:TRAP_HANDLER: 0
; COMPUTE_PGM_RSRC2:TGID_X_EN: 1
; COMPUTE_PGM_RSRC2:TGID_Y_EN: 1
; COMPUTE_PGM_RSRC2:TGID_Z_EN: 1
; COMPUTE_PGM_RSRC2:TIDIG_COMP_CNT: 0
	.section	.text._ZL10k_get_rowsILi32ELi1EXadL_ZL15dequantize_q8_0PKvliR15HIP_vector_typeIfLj2EEEE6__halfEvS1_PKiPT2_llS2_IjLj3EEmmmmmmmmm,"axG",@progbits,_ZL10k_get_rowsILi32ELi1EXadL_ZL15dequantize_q8_0PKvliR15HIP_vector_typeIfLj2EEEE6__halfEvS1_PKiPT2_llS2_IjLj3EEmmmmmmmmm,comdat
	.globl	_ZL10k_get_rowsILi32ELi1EXadL_ZL15dequantize_q8_0PKvliR15HIP_vector_typeIfLj2EEEE6__halfEvS1_PKiPT2_llS2_IjLj3EEmmmmmmmmm ; -- Begin function _ZL10k_get_rowsILi32ELi1EXadL_ZL15dequantize_q8_0PKvliR15HIP_vector_typeIfLj2EEEE6__halfEvS1_PKiPT2_llS2_IjLj3EEmmmmmmmmm
	.p2align	8
	.type	_ZL10k_get_rowsILi32ELi1EXadL_ZL15dequantize_q8_0PKvliR15HIP_vector_typeIfLj2EEEE6__halfEvS1_PKiPT2_llS2_IjLj3EEmmmmmmmmm,@function
_ZL10k_get_rowsILi32ELi1EXadL_ZL15dequantize_q8_0PKvliR15HIP_vector_typeIfLj2EEEE6__halfEvS1_PKiPT2_llS2_IjLj3EEmmmmmmmmm: ; @_ZL10k_get_rowsILi32ELi1EXadL_ZL15dequantize_q8_0PKvliR15HIP_vector_typeIfLj2EEEE6__halfEvS1_PKiPT2_llS2_IjLj3EEmmmmmmmmm
; %bb.0:
	s_load_dwordx4 s[28:31], s[4:5], 0x18
	s_load_dwordx2 s[10:11], s[4:5], 0x2c
	s_mov_b32 s9, 0
	v_mov_b32_e32 v1, s8
	v_mov_b32_e32 v2, s9
	s_waitcnt lgkmcnt(0)
	s_mul_i32 s0, s31, s11
	s_mul_hi_u32 s1, s30, s11
	s_add_i32 s31, s1, s0
	s_mul_i32 s30, s30, s11
	v_cmp_le_i64_e32 vcc, s[30:31], v[1:2]
	s_cbranch_vccnz .LBB29_6
; %bb.1:
	s_load_dwordx4 s[36:39], s[4:5], 0x0
	s_load_dwordx2 s[2:3], s[4:5], 0x10
	s_load_dwordx2 s[34:35], s[4:5], 0x78
	;; [unrolled: 1-line block ×3, first 2 shown]
	s_load_dword s33, s[4:5], 0x28
	s_load_dwordx16 s[12:27], s[4:5], 0x38
	s_add_u32 s4, s4, 0x80
	s_addc_u32 s5, s5, 0
	s_waitcnt lgkmcnt(0)
	s_and_b32 s41, s41, 0xffff
	s_mul_i32 s7, s7, s41
	v_add_lshl_u32 v0, s7, v0, 1
	s_ashr_i32 s7, s6, 31
	s_mul_hi_u32 s42, s24, s6
	s_mul_i32 s43, s24, s7
	s_add_i32 s42, s42, s43
	s_mul_i32 s25, s25, s6
	s_add_i32 s25, s42, s25
	s_mul_i32 s24, s24, s6
	s_lshl_b64 s[24:25], s[24:25], 2
	s_add_u32 s44, s38, s24
	s_mul_hi_u32 s24, s12, s6
	s_mul_i32 s7, s12, s7
	s_addc_u32 s45, s39, s25
	s_add_i32 s7, s24, s7
	s_mul_i32 s13, s13, s6
	s_add_i32 s7, s7, s13
	s_mul_i32 s6, s12, s6
	v_mov_b32_e32 v1, 0
	s_lshl_b64 s[6:7], s[6:7], 1
	v_cmp_gt_i64_e64 s[0:1], s[28:29], v[0:1]
	s_add_u32 s46, s2, s6
	v_lshlrev_b64 v[2:3], 27, v[0:1]
	s_addc_u32 s47, s3, s7
	v_mov_b32_e32 v4, v1
	v_mov_b32_e32 v5, v0
	s_mov_b64 s[6:7], s[8:9]
	s_branch .LBB29_3
.LBB29_2:                               ;   in Loop: Header=BB29_3 Depth=1
	s_or_b64 exec, exec, s[12:13]
	s_add_u32 s6, s6, s40
	v_mov_b32_e32 v6, s30
	s_addc_u32 s7, s7, 0
	v_mov_b32_e32 v7, s31
	v_cmp_ge_i64_e32 vcc, s[6:7], v[6:7]
	s_cbranch_vccnz .LBB29_6
.LBB29_3:                               ; =>This Loop Header: Depth=1
                                        ;     Child Loop BB29_5 Depth 2
	s_and_saveexec_b64 s[12:13], s[0:1]
	s_cbranch_execz .LBB29_2
; %bb.4:                                ;   in Loop: Header=BB29_3 Depth=1
	s_mul_hi_u32 s2, s6, s33
	s_add_i32 s2, s2, s6
	s_lshr_b32 s8, s2, s10
	s_mul_i32 s2, s8, s11
	s_sub_i32 s38, s6, s2
	s_ashr_i32 s39, s8, 31
	s_mul_i32 s2, s26, s39
	s_mul_hi_u32 s3, s26, s8
	s_ashr_i32 s42, s38, 31
	s_add_i32 s2, s3, s2
	s_mul_i32 s3, s27, s8
	s_mul_i32 s24, s34, s42
	s_mul_hi_u32 s25, s34, s38
	s_add_i32 s3, s2, s3
	s_mul_i32 s2, s26, s8
	s_add_i32 s24, s25, s24
	s_mul_i32 s25, s35, s38
	s_add_i32 s25, s24, s25
	s_lshl_b64 s[2:3], s[2:3], 2
	s_mul_i32 s24, s34, s38
	s_add_u32 s43, s44, s2
	s_addc_u32 s48, s45, s3
	s_lshl_b64 s[2:3], s[24:25], 2
	s_add_u32 s2, s43, s2
	s_addc_u32 s3, s48, s3
	s_load_dword s24, s[2:3], 0x0
	s_mul_i32 s2, s14, s39
	s_mul_hi_u32 s3, s14, s8
	s_add_i32 s2, s3, s2
	s_mul_i32 s3, s15, s8
	s_add_i32 s3, s2, s3
	s_mul_i32 s2, s14, s8
	s_waitcnt lgkmcnt(0)
	s_ashr_i32 s25, s24, 31
	s_lshl_b64 s[2:3], s[2:3], 1
	s_add_u32 s43, s46, s2
	s_addc_u32 s49, s47, s3
	s_mul_i32 s2, s16, s42
	s_mul_hi_u32 s3, s16, s38
	s_add_i32 s2, s3, s2
	s_mul_i32 s3, s17, s38
	s_add_i32 s3, s2, s3
	s_mul_i32 s2, s16, s38
	s_lshl_b64 s[2:3], s[2:3], 1
	s_add_u32 s48, s43, s2
	s_addc_u32 s2, s49, s3
	s_mul_i32 s3, s18, s25
	s_mul_hi_u32 s25, s18, s24
	s_add_i32 s3, s25, s3
	s_mul_i32 s25, s19, s24
	s_add_i32 s3, s3, s25
	s_mul_i32 s24, s18, s24
	s_add_u32 s24, s36, s24
	s_mul_i32 s25, s20, s39
	s_mul_hi_u32 s39, s20, s8
	s_addc_u32 s3, s37, s3
	s_add_i32 s25, s39, s25
	s_mul_i32 s39, s21, s8
	s_add_i32 s25, s25, s39
	s_mul_i32 s8, s20, s8
	s_load_dword s39, s[4:5], 0x4
	s_add_u32 s8, s24, s8
	s_addc_u32 s3, s3, s25
	s_mul_i32 s24, s22, s42
	s_mul_hi_u32 s25, s22, s38
	s_add_i32 s24, s25, s24
	s_mul_i32 s25, s23, s38
	s_add_i32 s25, s24, s25
	s_mul_i32 s24, s22, s38
	s_add_u32 s24, s8, s24
	s_waitcnt lgkmcnt(0)
	s_mul_i32 s8, s39, s41
	s_addc_u32 s25, s3, s25
	s_lshl_b64 s[38:39], s[8:9], 27
	v_mov_b32_e32 v7, v5
	v_mov_b32_e32 v9, v3
	;; [unrolled: 1-line block ×3, first 2 shown]
	s_mov_b64 s[42:43], 0
	v_mov_b32_e32 v12, s2
	v_mov_b32_e32 v13, s39
	;; [unrolled: 1-line block ×6, first 2 shown]
.LBB29_5:                               ;   Parent Loop BB29_3 Depth=1
                                        ; =>  This Inner Loop Header: Depth=2
	v_mad_i64_i32 v[15:16], s[2:3], v9, 34, s[24:25]
	v_and_b32_e32 v17, 31, v10
	v_add_co_u32_e32 v17, vcc, v15, v17
	v_addc_co_u32_e32 v18, vcc, 0, v16, vcc
	global_load_ushort v19, v[15:16], off
	global_load_ushort v20, v[17:18], off offset:2
	v_add_co_u32_e32 v10, vcc, s8, v10
	v_addc_co_u32_e32 v11, vcc, 0, v11, vcc
	v_add_co_u32_e32 v8, vcc, s38, v8
	v_addc_co_u32_e32 v9, vcc, v9, v13, vcc
	v_ashrrev_i64 v[15:16], 31, v[6:7]
	v_add_co_u32_e32 v6, vcc, 0, v6
	v_addc_co_u32_e32 v7, vcc, v7, v14, vcc
	v_cmp_le_i64_e32 vcc, s[28:29], v[10:11]
	v_add_co_u32_e64 v15, s[2:3], s48, v15
	v_addc_co_u32_e64 v16, s[2:3], v12, v16, s[2:3]
	s_or_b64 s[42:43], vcc, s[42:43]
	s_waitcnt vmcnt(0)
	v_bfe_i32 v17, v20, 0, 8
	v_ashrrev_i16_e32 v18, 8, v20
	v_cvt_f32_i32_sdwa v17, sext(v17) dst_sel:DWORD dst_unused:UNUSED_PAD src0_sel:WORD_0
	v_cvt_f32_i32_sdwa v18, sext(v18) dst_sel:DWORD dst_unused:UNUSED_PAD src0_sel:WORD_0
	v_fma_mixlo_f16 v17, v19, v17, 0 op_sel_hi:[1,0,0]
	v_fma_mixhi_f16 v17, v19, v18, 0 op_sel_hi:[1,0,0]
	global_store_dword v[15:16], v17, off
	s_andn2_b64 exec, exec, s[42:43]
	s_cbranch_execnz .LBB29_5
	s_branch .LBB29_2
.LBB29_6:
	s_endpgm
	.section	.rodata,"a",@progbits
	.p2align	6, 0x0
	.amdhsa_kernel _ZL10k_get_rowsILi32ELi1EXadL_ZL15dequantize_q8_0PKvliR15HIP_vector_typeIfLj2EEEE6__halfEvS1_PKiPT2_llS2_IjLj3EEmmmmmmmmm
		.amdhsa_group_segment_fixed_size 0
		.amdhsa_private_segment_fixed_size 0
		.amdhsa_kernarg_size 384
		.amdhsa_user_sgpr_count 6
		.amdhsa_user_sgpr_private_segment_buffer 1
		.amdhsa_user_sgpr_dispatch_ptr 0
		.amdhsa_user_sgpr_queue_ptr 0
		.amdhsa_user_sgpr_kernarg_segment_ptr 1
		.amdhsa_user_sgpr_dispatch_id 0
		.amdhsa_user_sgpr_flat_scratch_init 0
		.amdhsa_user_sgpr_private_segment_size 0
		.amdhsa_uses_dynamic_stack 0
		.amdhsa_system_sgpr_private_segment_wavefront_offset 0
		.amdhsa_system_sgpr_workgroup_id_x 1
		.amdhsa_system_sgpr_workgroup_id_y 1
		.amdhsa_system_sgpr_workgroup_id_z 1
		.amdhsa_system_sgpr_workgroup_info 0
		.amdhsa_system_vgpr_workitem_id 0
		.amdhsa_next_free_vgpr 21
		.amdhsa_next_free_sgpr 50
		.amdhsa_reserve_vcc 1
		.amdhsa_reserve_flat_scratch 0
		.amdhsa_float_round_mode_32 0
		.amdhsa_float_round_mode_16_64 0
		.amdhsa_float_denorm_mode_32 3
		.amdhsa_float_denorm_mode_16_64 3
		.amdhsa_dx10_clamp 1
		.amdhsa_ieee_mode 1
		.amdhsa_fp16_overflow 0
		.amdhsa_exception_fp_ieee_invalid_op 0
		.amdhsa_exception_fp_denorm_src 0
		.amdhsa_exception_fp_ieee_div_zero 0
		.amdhsa_exception_fp_ieee_overflow 0
		.amdhsa_exception_fp_ieee_underflow 0
		.amdhsa_exception_fp_ieee_inexact 0
		.amdhsa_exception_int_div_zero 0
	.end_amdhsa_kernel
	.section	.text._ZL10k_get_rowsILi32ELi1EXadL_ZL15dequantize_q8_0PKvliR15HIP_vector_typeIfLj2EEEE6__halfEvS1_PKiPT2_llS2_IjLj3EEmmmmmmmmm,"axG",@progbits,_ZL10k_get_rowsILi32ELi1EXadL_ZL15dequantize_q8_0PKvliR15HIP_vector_typeIfLj2EEEE6__halfEvS1_PKiPT2_llS2_IjLj3EEmmmmmmmmm,comdat
.Lfunc_end29:
	.size	_ZL10k_get_rowsILi32ELi1EXadL_ZL15dequantize_q8_0PKvliR15HIP_vector_typeIfLj2EEEE6__halfEvS1_PKiPT2_llS2_IjLj3EEmmmmmmmmm, .Lfunc_end29-_ZL10k_get_rowsILi32ELi1EXadL_ZL15dequantize_q8_0PKvliR15HIP_vector_typeIfLj2EEEE6__halfEvS1_PKiPT2_llS2_IjLj3EEmmmmmmmmm
                                        ; -- End function
	.set _ZL10k_get_rowsILi32ELi1EXadL_ZL15dequantize_q8_0PKvliR15HIP_vector_typeIfLj2EEEE6__halfEvS1_PKiPT2_llS2_IjLj3EEmmmmmmmmm.num_vgpr, 21
	.set _ZL10k_get_rowsILi32ELi1EXadL_ZL15dequantize_q8_0PKvliR15HIP_vector_typeIfLj2EEEE6__halfEvS1_PKiPT2_llS2_IjLj3EEmmmmmmmmm.num_agpr, 0
	.set _ZL10k_get_rowsILi32ELi1EXadL_ZL15dequantize_q8_0PKvliR15HIP_vector_typeIfLj2EEEE6__halfEvS1_PKiPT2_llS2_IjLj3EEmmmmmmmmm.numbered_sgpr, 50
	.set _ZL10k_get_rowsILi32ELi1EXadL_ZL15dequantize_q8_0PKvliR15HIP_vector_typeIfLj2EEEE6__halfEvS1_PKiPT2_llS2_IjLj3EEmmmmmmmmm.num_named_barrier, 0
	.set _ZL10k_get_rowsILi32ELi1EXadL_ZL15dequantize_q8_0PKvliR15HIP_vector_typeIfLj2EEEE6__halfEvS1_PKiPT2_llS2_IjLj3EEmmmmmmmmm.private_seg_size, 0
	.set _ZL10k_get_rowsILi32ELi1EXadL_ZL15dequantize_q8_0PKvliR15HIP_vector_typeIfLj2EEEE6__halfEvS1_PKiPT2_llS2_IjLj3EEmmmmmmmmm.uses_vcc, 1
	.set _ZL10k_get_rowsILi32ELi1EXadL_ZL15dequantize_q8_0PKvliR15HIP_vector_typeIfLj2EEEE6__halfEvS1_PKiPT2_llS2_IjLj3EEmmmmmmmmm.uses_flat_scratch, 0
	.set _ZL10k_get_rowsILi32ELi1EXadL_ZL15dequantize_q8_0PKvliR15HIP_vector_typeIfLj2EEEE6__halfEvS1_PKiPT2_llS2_IjLj3EEmmmmmmmmm.has_dyn_sized_stack, 0
	.set _ZL10k_get_rowsILi32ELi1EXadL_ZL15dequantize_q8_0PKvliR15HIP_vector_typeIfLj2EEEE6__halfEvS1_PKiPT2_llS2_IjLj3EEmmmmmmmmm.has_recursion, 0
	.set _ZL10k_get_rowsILi32ELi1EXadL_ZL15dequantize_q8_0PKvliR15HIP_vector_typeIfLj2EEEE6__halfEvS1_PKiPT2_llS2_IjLj3EEmmmmmmmmm.has_indirect_call, 0
	.section	.AMDGPU.csdata,"",@progbits
; Kernel info:
; codeLenInByte = 796
; TotalNumSgprs: 54
; NumVgprs: 21
; ScratchSize: 0
; MemoryBound: 0
; FloatMode: 240
; IeeeMode: 1
; LDSByteSize: 0 bytes/workgroup (compile time only)
; SGPRBlocks: 6
; VGPRBlocks: 5
; NumSGPRsForWavesPerEU: 54
; NumVGPRsForWavesPerEU: 21
; Occupancy: 10
; WaveLimiterHint : 1
; COMPUTE_PGM_RSRC2:SCRATCH_EN: 0
; COMPUTE_PGM_RSRC2:USER_SGPR: 6
; COMPUTE_PGM_RSRC2:TRAP_HANDLER: 0
; COMPUTE_PGM_RSRC2:TGID_X_EN: 1
; COMPUTE_PGM_RSRC2:TGID_Y_EN: 1
; COMPUTE_PGM_RSRC2:TGID_Z_EN: 1
; COMPUTE_PGM_RSRC2:TIDIG_COMP_CNT: 0
	.section	.text._ZL16k_get_rows_floatI6__half14__hip_bfloat16EvPKT_PKiPT0_ll15HIP_vector_typeIjLj3EEmmmmmmmmm,"axG",@progbits,_ZL16k_get_rows_floatI6__half14__hip_bfloat16EvPKT_PKiPT0_ll15HIP_vector_typeIjLj3EEmmmmmmmmm,comdat
	.globl	_ZL16k_get_rows_floatI6__half14__hip_bfloat16EvPKT_PKiPT0_ll15HIP_vector_typeIjLj3EEmmmmmmmmm ; -- Begin function _ZL16k_get_rows_floatI6__half14__hip_bfloat16EvPKT_PKiPT0_ll15HIP_vector_typeIjLj3EEmmmmmmmmm
	.p2align	8
	.type	_ZL16k_get_rows_floatI6__half14__hip_bfloat16EvPKT_PKiPT0_ll15HIP_vector_typeIjLj3EEmmmmmmmmm,@function
_ZL16k_get_rows_floatI6__half14__hip_bfloat16EvPKT_PKiPT0_ll15HIP_vector_typeIjLj3EEmmmmmmmmm: ; @_ZL16k_get_rows_floatI6__half14__hip_bfloat16EvPKT_PKiPT0_ll15HIP_vector_typeIjLj3EEmmmmmmmmm
; %bb.0:
	s_load_dwordx2 s[0:1], s[4:5], 0x20
	s_load_dwordx2 s[2:3], s[4:5], 0x2c
	s_mov_b32 s9, 0
	v_mov_b32_e32 v1, s8
	v_mov_b32_e32 v2, s9
	s_waitcnt lgkmcnt(0)
	s_mul_i32 s1, s1, s3
	s_mul_hi_u32 s10, s0, s3
	s_add_i32 s31, s10, s1
	s_mul_i32 s30, s0, s3
	v_cmp_le_i64_e32 vcc, s[30:31], v[1:2]
	s_cbranch_vccnz .LBB30_6
; %bb.1:
	s_load_dwordx8 s[36:43], s[4:5], 0x0
	s_load_dwordx2 s[10:11], s[4:5], 0x78
	s_load_dwordx2 s[28:29], s[4:5], 0x88
	s_load_dword s33, s[4:5], 0x28
	s_load_dwordx16 s[12:27], s[4:5], 0x38
	s_add_u32 s4, s4, 0x80
	s_addc_u32 s5, s5, 0
	s_waitcnt lgkmcnt(0)
	s_and_b32 s29, s29, 0xffff
	s_mul_i32 s7, s7, s29
	v_add_u32_e32 v0, s7, v0
	s_ashr_i32 s7, s6, 31
	s_mul_hi_u32 s34, s24, s6
	s_mul_i32 s35, s24, s7
	s_add_i32 s34, s34, s35
	s_mul_i32 s25, s25, s6
	s_add_i32 s25, s34, s25
	s_mul_i32 s24, s24, s6
	s_lshl_b64 s[24:25], s[24:25], 2
	s_add_u32 s38, s38, s24
	s_mul_hi_u32 s24, s12, s6
	s_mul_i32 s7, s12, s7
	s_addc_u32 s39, s39, s25
	s_add_i32 s7, s24, s7
	s_mul_i32 s13, s13, s6
	s_add_i32 s7, s7, s13
	s_mul_i32 s6, s12, s6
	v_mov_b32_e32 v1, 0
	s_lshl_b64 s[6:7], s[6:7], 1
	v_lshlrev_b64 v[2:3], 1, v[0:1]
	s_add_u32 s6, s40, s6
	s_addc_u32 s7, s41, s7
	v_mov_b32_e32 v4, s7
	v_add_co_u32_e32 v6, vcc, s6, v2
	v_addc_co_u32_e32 v7, vcc, v4, v3, vcc
	v_mov_b32_e32 v4, s37
	v_add_co_u32_e32 v8, vcc, s36, v2
	v_cmp_gt_i64_e64 s[0:1], s[42:43], v[0:1]
	v_addc_co_u32_e32 v9, vcc, v4, v3, vcc
	v_mov_b32_e32 v2, s30
	s_lshl_b64 s[6:7], s[14:15], 1
	s_lshl_b64 s[12:13], s[16:17], 1
	s_movk_i32 s40, 0x7fff
	v_mov_b32_e32 v3, s31
	s_mov_b64 s[14:15], s[8:9]
	s_branch .LBB30_3
.LBB30_2:                               ;   in Loop: Header=BB30_3 Depth=1
	s_or_b64 exec, exec, s[16:17]
	s_add_u32 s14, s14, s28
	s_addc_u32 s15, s15, 0
	v_cmp_lt_i64_e32 vcc, s[14:15], v[2:3]
	s_cbranch_vccz .LBB30_6
.LBB30_3:                               ; =>This Loop Header: Depth=1
                                        ;     Child Loop BB30_5 Depth 2
	s_and_saveexec_b64 s[16:17], s[0:1]
	s_cbranch_execz .LBB30_2
; %bb.4:                                ;   in Loop: Header=BB30_3 Depth=1
	s_mul_hi_u32 s8, s14, s33
	s_add_i32 s8, s8, s14
	s_lshr_b32 s34, s8, s2
	s_mul_i32 s8, s34, s3
	s_ashr_i32 s36, s34, 31
	s_sub_i32 s35, s14, s8
	s_mul_i32 s8, s26, s36
	s_mul_hi_u32 s24, s26, s34
	s_add_i32 s8, s24, s8
	s_mul_i32 s24, s27, s34
	s_ashr_i32 s37, s35, 31
	s_add_i32 s25, s8, s24
	s_mul_i32 s8, s10, s37
	s_mul_hi_u32 s30, s10, s35
	s_mul_i32 s24, s26, s34
	s_add_i32 s8, s30, s8
	s_mul_i32 s30, s11, s35
	s_add_i32 s31, s8, s30
	s_lshl_b64 s[24:25], s[24:25], 2
	s_mul_i32 s30, s10, s35
	s_add_u32 s8, s38, s24
	s_addc_u32 s41, s39, s25
	s_lshl_b64 s[24:25], s[30:31], 2
	s_load_dword s31, s[4:5], 0x4
	s_add_u32 s24, s8, s24
	s_mul_i32 s8, s20, s36
	s_mul_hi_u32 s30, s20, s34
	s_addc_u32 s25, s41, s25
	s_add_i32 s8, s30, s8
	s_mul_i32 s30, s21, s34
	s_add_i32 s41, s8, s30
	s_waitcnt lgkmcnt(0)
	s_mul_i32 s8, s31, s29
	s_mul_i32 s30, s6, s36
	s_mul_hi_u32 s31, s6, s34
	s_add_i32 s30, s31, s30
	s_mul_i32 s31, s7, s34
	s_mul_i32 s44, s20, s34
	s_add_i32 s30, s30, s31
	s_mul_i32 s31, s6, s34
	s_mul_i32 s34, s12, s37
	s_mul_hi_u32 s36, s12, s35
	s_add_i32 s34, s36, s34
	s_mul_i32 s36, s13, s35
	s_add_i32 s34, s34, s36
	s_mul_i32 s36, s12, s35
	s_add_u32 s31, s31, s36
	s_addc_u32 s30, s30, s34
	s_mul_i32 s34, s22, s37
	s_mul_hi_u32 s36, s22, s35
	s_add_i32 s34, s36, s34
	s_mul_i32 s36, s23, s35
	v_mov_b32_e32 v4, s30
	v_add_co_u32_e32 v10, vcc, s31, v6
	s_lshl_b64 s[30:31], s[8:9], 1
	s_add_i32 s34, s34, s36
	s_mul_i32 s35, s22, s35
	s_add_u32 s35, s44, s35
	v_addc_co_u32_e32 v11, vcc, v7, v4, vcc
	s_addc_u32 s34, s41, s34
	v_mov_b32_e32 v4, s34
	v_add_co_u32_e32 v12, vcc, s35, v8
	v_addc_co_u32_e32 v13, vcc, v9, v4, vcc
	v_mov_b32_e32 v5, v1
	s_mov_b64 s[34:35], 0
	s_mov_b64 s[36:37], 0
	v_mov_b32_e32 v4, v0
.LBB30_5:                               ;   Parent Loop BB30_3 Depth=1
                                        ; =>  This Inner Loop Header: Depth=2
	global_load_dword v14, v1, s[24:25]
	v_mov_b32_e32 v15, s37
	s_waitcnt vmcnt(0)
	v_ashrrev_i32_e32 v16, 31, v14
	v_mul_hi_u32 v17, s18, v14
	v_mul_lo_u32 v16, s18, v16
	v_mul_lo_u32 v18, s19, v14
	;; [unrolled: 1-line block ×3, first 2 shown]
	v_add_u32_e32 v16, v17, v16
	v_add_u32_e32 v16, v16, v18
	v_add_co_u32_e32 v14, vcc, s36, v14
	v_addc_co_u32_e32 v15, vcc, v15, v16, vcc
	v_add_co_u32_e32 v14, vcc, v12, v14
	v_addc_co_u32_e32 v15, vcc, v13, v15, vcc
	global_load_ushort v16, v[14:15], off
	v_add_co_u32_e32 v4, vcc, s8, v4
	v_addc_co_u32_e32 v5, vcc, 0, v5, vcc
	v_mov_b32_e32 v15, s37
	v_add_co_u32_e32 v14, vcc, s36, v10
	v_addc_co_u32_e32 v15, vcc, v11, v15, vcc
	v_cmp_le_i64_e32 vcc, s[42:43], v[4:5]
	s_add_u32 s36, s36, s30
	s_addc_u32 s37, s37, s31
	s_or_b64 s[34:35], vcc, s[34:35]
	s_waitcnt vmcnt(0)
	v_cvt_f32_f16_e32 v16, v16
	v_bfe_u32 v17, v16, 16, 1
	v_or_b32_e32 v18, 0x400000, v16
	v_add3_u32 v17, v17, v16, s40
	v_cmp_u_f32_e32 vcc, v16, v16
	v_cndmask_b32_e32 v16, v17, v18, vcc
	global_store_short_d16_hi v[14:15], v16, off
	s_andn2_b64 exec, exec, s[34:35]
	s_cbranch_execnz .LBB30_5
	s_branch .LBB30_2
.LBB30_6:
	s_endpgm
	.section	.rodata,"a",@progbits
	.p2align	6, 0x0
	.amdhsa_kernel _ZL16k_get_rows_floatI6__half14__hip_bfloat16EvPKT_PKiPT0_ll15HIP_vector_typeIjLj3EEmmmmmmmmm
		.amdhsa_group_segment_fixed_size 0
		.amdhsa_private_segment_fixed_size 0
		.amdhsa_kernarg_size 384
		.amdhsa_user_sgpr_count 6
		.amdhsa_user_sgpr_private_segment_buffer 1
		.amdhsa_user_sgpr_dispatch_ptr 0
		.amdhsa_user_sgpr_queue_ptr 0
		.amdhsa_user_sgpr_kernarg_segment_ptr 1
		.amdhsa_user_sgpr_dispatch_id 0
		.amdhsa_user_sgpr_flat_scratch_init 0
		.amdhsa_user_sgpr_private_segment_size 0
		.amdhsa_uses_dynamic_stack 0
		.amdhsa_system_sgpr_private_segment_wavefront_offset 0
		.amdhsa_system_sgpr_workgroup_id_x 1
		.amdhsa_system_sgpr_workgroup_id_y 1
		.amdhsa_system_sgpr_workgroup_id_z 1
		.amdhsa_system_sgpr_workgroup_info 0
		.amdhsa_system_vgpr_workitem_id 0
		.amdhsa_next_free_vgpr 19
		.amdhsa_next_free_sgpr 45
		.amdhsa_reserve_vcc 1
		.amdhsa_reserve_flat_scratch 0
		.amdhsa_float_round_mode_32 0
		.amdhsa_float_round_mode_16_64 0
		.amdhsa_float_denorm_mode_32 3
		.amdhsa_float_denorm_mode_16_64 3
		.amdhsa_dx10_clamp 1
		.amdhsa_ieee_mode 1
		.amdhsa_fp16_overflow 0
		.amdhsa_exception_fp_ieee_invalid_op 0
		.amdhsa_exception_fp_denorm_src 0
		.amdhsa_exception_fp_ieee_div_zero 0
		.amdhsa_exception_fp_ieee_overflow 0
		.amdhsa_exception_fp_ieee_underflow 0
		.amdhsa_exception_fp_ieee_inexact 0
		.amdhsa_exception_int_div_zero 0
	.end_amdhsa_kernel
	.section	.text._ZL16k_get_rows_floatI6__half14__hip_bfloat16EvPKT_PKiPT0_ll15HIP_vector_typeIjLj3EEmmmmmmmmm,"axG",@progbits,_ZL16k_get_rows_floatI6__half14__hip_bfloat16EvPKT_PKiPT0_ll15HIP_vector_typeIjLj3EEmmmmmmmmm,comdat
.Lfunc_end30:
	.size	_ZL16k_get_rows_floatI6__half14__hip_bfloat16EvPKT_PKiPT0_ll15HIP_vector_typeIjLj3EEmmmmmmmmm, .Lfunc_end30-_ZL16k_get_rows_floatI6__half14__hip_bfloat16EvPKT_PKiPT0_ll15HIP_vector_typeIjLj3EEmmmmmmmmm
                                        ; -- End function
	.set _ZL16k_get_rows_floatI6__half14__hip_bfloat16EvPKT_PKiPT0_ll15HIP_vector_typeIjLj3EEmmmmmmmmm.num_vgpr, 19
	.set _ZL16k_get_rows_floatI6__half14__hip_bfloat16EvPKT_PKiPT0_ll15HIP_vector_typeIjLj3EEmmmmmmmmm.num_agpr, 0
	.set _ZL16k_get_rows_floatI6__half14__hip_bfloat16EvPKT_PKiPT0_ll15HIP_vector_typeIjLj3EEmmmmmmmmm.numbered_sgpr, 45
	.set _ZL16k_get_rows_floatI6__half14__hip_bfloat16EvPKT_PKiPT0_ll15HIP_vector_typeIjLj3EEmmmmmmmmm.num_named_barrier, 0
	.set _ZL16k_get_rows_floatI6__half14__hip_bfloat16EvPKT_PKiPT0_ll15HIP_vector_typeIjLj3EEmmmmmmmmm.private_seg_size, 0
	.set _ZL16k_get_rows_floatI6__half14__hip_bfloat16EvPKT_PKiPT0_ll15HIP_vector_typeIjLj3EEmmmmmmmmm.uses_vcc, 1
	.set _ZL16k_get_rows_floatI6__half14__hip_bfloat16EvPKT_PKiPT0_ll15HIP_vector_typeIjLj3EEmmmmmmmmm.uses_flat_scratch, 0
	.set _ZL16k_get_rows_floatI6__half14__hip_bfloat16EvPKT_PKiPT0_ll15HIP_vector_typeIjLj3EEmmmmmmmmm.has_dyn_sized_stack, 0
	.set _ZL16k_get_rows_floatI6__half14__hip_bfloat16EvPKT_PKiPT0_ll15HIP_vector_typeIjLj3EEmmmmmmmmm.has_recursion, 0
	.set _ZL16k_get_rows_floatI6__half14__hip_bfloat16EvPKT_PKiPT0_ll15HIP_vector_typeIjLj3EEmmmmmmmmm.has_indirect_call, 0
	.section	.AMDGPU.csdata,"",@progbits
; Kernel info:
; codeLenInByte = 760
; TotalNumSgprs: 49
; NumVgprs: 19
; ScratchSize: 0
; MemoryBound: 0
; FloatMode: 240
; IeeeMode: 1
; LDSByteSize: 0 bytes/workgroup (compile time only)
; SGPRBlocks: 6
; VGPRBlocks: 4
; NumSGPRsForWavesPerEU: 49
; NumVGPRsForWavesPerEU: 19
; Occupancy: 10
; WaveLimiterHint : 1
; COMPUTE_PGM_RSRC2:SCRATCH_EN: 0
; COMPUTE_PGM_RSRC2:USER_SGPR: 6
; COMPUTE_PGM_RSRC2:TRAP_HANDLER: 0
; COMPUTE_PGM_RSRC2:TGID_X_EN: 1
; COMPUTE_PGM_RSRC2:TGID_Y_EN: 1
; COMPUTE_PGM_RSRC2:TGID_Z_EN: 1
; COMPUTE_PGM_RSRC2:TIDIG_COMP_CNT: 0
	.section	.text._ZL16k_get_rows_floatIf14__hip_bfloat16EvPKT_PKiPT0_ll15HIP_vector_typeIjLj3EEmmmmmmmmm,"axG",@progbits,_ZL16k_get_rows_floatIf14__hip_bfloat16EvPKT_PKiPT0_ll15HIP_vector_typeIjLj3EEmmmmmmmmm,comdat
	.globl	_ZL16k_get_rows_floatIf14__hip_bfloat16EvPKT_PKiPT0_ll15HIP_vector_typeIjLj3EEmmmmmmmmm ; -- Begin function _ZL16k_get_rows_floatIf14__hip_bfloat16EvPKT_PKiPT0_ll15HIP_vector_typeIjLj3EEmmmmmmmmm
	.p2align	8
	.type	_ZL16k_get_rows_floatIf14__hip_bfloat16EvPKT_PKiPT0_ll15HIP_vector_typeIjLj3EEmmmmmmmmm,@function
_ZL16k_get_rows_floatIf14__hip_bfloat16EvPKT_PKiPT0_ll15HIP_vector_typeIjLj3EEmmmmmmmmm: ; @_ZL16k_get_rows_floatIf14__hip_bfloat16EvPKT_PKiPT0_ll15HIP_vector_typeIjLj3EEmmmmmmmmm
; %bb.0:
	s_load_dwordx2 s[0:1], s[4:5], 0x20
	s_load_dwordx2 s[2:3], s[4:5], 0x2c
	s_mov_b32 s9, 0
	v_mov_b32_e32 v1, s8
	v_mov_b32_e32 v2, s9
	s_waitcnt lgkmcnt(0)
	s_mul_i32 s1, s1, s3
	s_mul_hi_u32 s10, s0, s3
	s_add_i32 s11, s10, s1
	s_mul_i32 s10, s0, s3
	v_cmp_le_i64_e32 vcc, s[10:11], v[1:2]
	s_cbranch_vccnz .LBB31_6
; %bb.1:
	s_load_dwordx8 s[36:43], s[4:5], 0x0
	s_load_dwordx2 s[28:29], s[4:5], 0x78
	s_load_dwordx2 s[30:31], s[4:5], 0x88
	s_load_dword s33, s[4:5], 0x28
	s_load_dwordx16 s[12:27], s[4:5], 0x38
	s_add_u32 s4, s4, 0x80
	s_addc_u32 s5, s5, 0
	s_waitcnt lgkmcnt(0)
	s_and_b32 s31, s31, 0xffff
	s_mul_i32 s7, s7, s31
	v_add_u32_e32 v0, s7, v0
	s_ashr_i32 s7, s6, 31
	s_mul_hi_u32 s34, s24, s6
	s_mul_i32 s35, s24, s7
	s_add_i32 s34, s34, s35
	s_mul_i32 s25, s25, s6
	s_add_i32 s25, s34, s25
	s_mul_i32 s24, s24, s6
	s_lshl_b64 s[24:25], s[24:25], 2
	s_add_u32 s44, s38, s24
	s_mul_hi_u32 s24, s12, s6
	s_mul_i32 s7, s12, s7
	s_addc_u32 s45, s39, s25
	s_add_i32 s7, s24, s7
	s_mul_i32 s13, s13, s6
	s_add_i32 s7, s7, s13
	s_mul_i32 s6, s12, s6
	v_mov_b32_e32 v1, 0
	s_lshl_b64 s[6:7], s[6:7], 1
	v_lshlrev_b64 v[2:3], 1, v[0:1]
	s_add_u32 s6, s40, s6
	s_addc_u32 s7, s41, s7
	v_mov_b32_e32 v4, s7
	v_add_co_u32_e32 v8, vcc, s6, v2
	v_addc_co_u32_e32 v9, vcc, v4, v3, vcc
	v_lshlrev_b64 v[2:3], 2, v[0:1]
	v_cmp_gt_i64_e64 s[0:1], s[42:43], v[0:1]
	v_mov_b32_e32 v4, s37
	v_add_co_u32_e32 v10, vcc, s36, v2
	s_lshl_b64 s[6:7], s[14:15], 1
	s_lshl_b64 s[12:13], s[16:17], 1
	v_addc_co_u32_e32 v11, vcc, v4, v3, vcc
	s_movk_i32 s40, 0x7fff
	s_mov_b64 s[14:15], s[8:9]
	s_branch .LBB31_3
.LBB31_2:                               ;   in Loop: Header=BB31_3 Depth=1
	s_or_b64 exec, exec, s[16:17]
	s_add_u32 s14, s14, s30
	v_mov_b32_e32 v2, s10
	s_addc_u32 s15, s15, 0
	v_mov_b32_e32 v3, s11
	v_cmp_lt_i64_e32 vcc, s[14:15], v[2:3]
	s_cbranch_vccz .LBB31_6
.LBB31_3:                               ; =>This Loop Header: Depth=1
                                        ;     Child Loop BB31_5 Depth 2
	s_and_saveexec_b64 s[16:17], s[0:1]
	s_cbranch_execz .LBB31_2
; %bb.4:                                ;   in Loop: Header=BB31_3 Depth=1
	s_mul_hi_u32 s8, s14, s33
	s_add_i32 s8, s8, s14
	s_lshr_b32 s36, s8, s2
	s_mul_i32 s8, s36, s3
	s_ashr_i32 s38, s36, 31
	s_sub_i32 s37, s14, s8
	s_mul_i32 s8, s26, s38
	s_mul_hi_u32 s24, s26, s36
	s_add_i32 s8, s24, s8
	s_mul_i32 s24, s27, s36
	s_ashr_i32 s39, s37, 31
	s_add_i32 s25, s8, s24
	s_mul_i32 s8, s28, s39
	s_mul_hi_u32 s34, s28, s37
	s_mul_i32 s24, s26, s36
	s_add_i32 s8, s34, s8
	s_mul_i32 s34, s29, s37
	s_add_i32 s35, s8, s34
	s_lshl_b64 s[24:25], s[24:25], 2
	s_mul_i32 s34, s28, s37
	s_add_u32 s8, s44, s24
	s_addc_u32 s41, s45, s25
	s_lshl_b64 s[24:25], s[34:35], 2
	s_load_dword s35, s[4:5], 0x4
	s_add_u32 s24, s8, s24
	s_mul_i32 s8, s20, s38
	s_mul_hi_u32 s34, s20, s36
	s_addc_u32 s25, s41, s25
	s_add_i32 s8, s34, s8
	s_mul_i32 s34, s21, s36
	s_add_i32 s41, s8, s34
	s_waitcnt lgkmcnt(0)
	s_mul_i32 s8, s35, s31
	s_mul_i32 s34, s6, s38
	s_mul_hi_u32 s35, s6, s36
	s_add_i32 s34, s35, s34
	s_mul_i32 s35, s7, s36
	s_mul_i32 s46, s20, s36
	s_add_i32 s34, s34, s35
	s_mul_i32 s35, s6, s36
	s_mul_i32 s36, s12, s39
	s_mul_hi_u32 s38, s12, s37
	s_add_i32 s36, s38, s36
	s_mul_i32 s38, s13, s37
	s_add_i32 s36, s36, s38
	s_mul_i32 s38, s12, s37
	s_add_u32 s35, s35, s38
	s_addc_u32 s34, s34, s36
	s_mul_i32 s36, s22, s39
	s_mul_hi_u32 s38, s22, s37
	s_add_i32 s36, s38, s36
	s_mul_i32 s38, s23, s37
	v_mov_b32_e32 v3, s34
	v_add_co_u32_e32 v2, vcc, s35, v8
	s_lshl_b64 s[34:35], s[8:9], 1
	s_add_i32 s36, s36, s38
	s_mul_i32 s37, s22, s37
	s_add_u32 s37, s46, s37
	v_addc_co_u32_e32 v3, vcc, v9, v3, vcc
	s_addc_u32 s36, s41, s36
	v_mov_b32_e32 v5, s36
	v_add_co_u32_e32 v4, vcc, s37, v10
	s_lshl_b64 s[36:37], s[8:9], 2
	v_mov_b32_e32 v7, v1
	v_addc_co_u32_e32 v5, vcc, v11, v5, vcc
	s_mov_b64 s[38:39], 0
	v_mov_b32_e32 v12, s35
	v_mov_b32_e32 v13, s37
	;; [unrolled: 1-line block ×3, first 2 shown]
.LBB31_5:                               ;   Parent Loop BB31_3 Depth=1
                                        ; =>  This Inner Loop Header: Depth=2
	global_load_dword v14, v1, s[24:25]
	v_add_co_u32_e32 v6, vcc, s8, v6
	v_addc_co_u32_e32 v7, vcc, 0, v7, vcc
	v_cmp_le_i64_e32 vcc, s[42:43], v[6:7]
	s_or_b64 s[38:39], vcc, s[38:39]
	s_waitcnt vmcnt(0)
	v_ashrrev_i32_e32 v16, 31, v14
	v_mul_lo_u32 v17, s19, v14
	v_mul_lo_u32 v16, s18, v16
	v_mad_u64_u32 v[14:15], s[46:47], s18, v14, v[4:5]
	v_add_co_u32_e32 v4, vcc, s36, v4
	v_add_u32_e32 v16, v16, v17
	v_add_u32_e32 v15, v16, v15
	global_load_dword v14, v[14:15], off
	v_addc_co_u32_e32 v5, vcc, v5, v13, vcc
	s_waitcnt vmcnt(0)
	v_bfe_u32 v15, v14, 16, 1
	v_or_b32_e32 v16, 0x400000, v14
	v_add3_u32 v15, v15, v14, s40
	v_cmp_u_f32_e32 vcc, v14, v14
	v_cndmask_b32_e32 v14, v15, v16, vcc
	global_store_short_d16_hi v[2:3], v14, off
	v_add_co_u32_e32 v2, vcc, s34, v2
	v_addc_co_u32_e32 v3, vcc, v3, v12, vcc
	s_andn2_b64 exec, exec, s[38:39]
	s_cbranch_execnz .LBB31_5
	s_branch .LBB31_2
.LBB31_6:
	s_endpgm
	.section	.rodata,"a",@progbits
	.p2align	6, 0x0
	.amdhsa_kernel _ZL16k_get_rows_floatIf14__hip_bfloat16EvPKT_PKiPT0_ll15HIP_vector_typeIjLj3EEmmmmmmmmm
		.amdhsa_group_segment_fixed_size 0
		.amdhsa_private_segment_fixed_size 0
		.amdhsa_kernarg_size 384
		.amdhsa_user_sgpr_count 6
		.amdhsa_user_sgpr_private_segment_buffer 1
		.amdhsa_user_sgpr_dispatch_ptr 0
		.amdhsa_user_sgpr_queue_ptr 0
		.amdhsa_user_sgpr_kernarg_segment_ptr 1
		.amdhsa_user_sgpr_dispatch_id 0
		.amdhsa_user_sgpr_flat_scratch_init 0
		.amdhsa_user_sgpr_private_segment_size 0
		.amdhsa_uses_dynamic_stack 0
		.amdhsa_system_sgpr_private_segment_wavefront_offset 0
		.amdhsa_system_sgpr_workgroup_id_x 1
		.amdhsa_system_sgpr_workgroup_id_y 1
		.amdhsa_system_sgpr_workgroup_id_z 1
		.amdhsa_system_sgpr_workgroup_info 0
		.amdhsa_system_vgpr_workitem_id 0
		.amdhsa_next_free_vgpr 18
		.amdhsa_next_free_sgpr 48
		.amdhsa_reserve_vcc 1
		.amdhsa_reserve_flat_scratch 0
		.amdhsa_float_round_mode_32 0
		.amdhsa_float_round_mode_16_64 0
		.amdhsa_float_denorm_mode_32 3
		.amdhsa_float_denorm_mode_16_64 3
		.amdhsa_dx10_clamp 1
		.amdhsa_ieee_mode 1
		.amdhsa_fp16_overflow 0
		.amdhsa_exception_fp_ieee_invalid_op 0
		.amdhsa_exception_fp_denorm_src 0
		.amdhsa_exception_fp_ieee_div_zero 0
		.amdhsa_exception_fp_ieee_overflow 0
		.amdhsa_exception_fp_ieee_underflow 0
		.amdhsa_exception_fp_ieee_inexact 0
		.amdhsa_exception_int_div_zero 0
	.end_amdhsa_kernel
	.section	.text._ZL16k_get_rows_floatIf14__hip_bfloat16EvPKT_PKiPT0_ll15HIP_vector_typeIjLj3EEmmmmmmmmm,"axG",@progbits,_ZL16k_get_rows_floatIf14__hip_bfloat16EvPKT_PKiPT0_ll15HIP_vector_typeIjLj3EEmmmmmmmmm,comdat
.Lfunc_end31:
	.size	_ZL16k_get_rows_floatIf14__hip_bfloat16EvPKT_PKiPT0_ll15HIP_vector_typeIjLj3EEmmmmmmmmm, .Lfunc_end31-_ZL16k_get_rows_floatIf14__hip_bfloat16EvPKT_PKiPT0_ll15HIP_vector_typeIjLj3EEmmmmmmmmm
                                        ; -- End function
	.set _ZL16k_get_rows_floatIf14__hip_bfloat16EvPKT_PKiPT0_ll15HIP_vector_typeIjLj3EEmmmmmmmmm.num_vgpr, 18
	.set _ZL16k_get_rows_floatIf14__hip_bfloat16EvPKT_PKiPT0_ll15HIP_vector_typeIjLj3EEmmmmmmmmm.num_agpr, 0
	.set _ZL16k_get_rows_floatIf14__hip_bfloat16EvPKT_PKiPT0_ll15HIP_vector_typeIjLj3EEmmmmmmmmm.numbered_sgpr, 48
	.set _ZL16k_get_rows_floatIf14__hip_bfloat16EvPKT_PKiPT0_ll15HIP_vector_typeIjLj3EEmmmmmmmmm.num_named_barrier, 0
	.set _ZL16k_get_rows_floatIf14__hip_bfloat16EvPKT_PKiPT0_ll15HIP_vector_typeIjLj3EEmmmmmmmmm.private_seg_size, 0
	.set _ZL16k_get_rows_floatIf14__hip_bfloat16EvPKT_PKiPT0_ll15HIP_vector_typeIjLj3EEmmmmmmmmm.uses_vcc, 1
	.set _ZL16k_get_rows_floatIf14__hip_bfloat16EvPKT_PKiPT0_ll15HIP_vector_typeIjLj3EEmmmmmmmmm.uses_flat_scratch, 0
	.set _ZL16k_get_rows_floatIf14__hip_bfloat16EvPKT_PKiPT0_ll15HIP_vector_typeIjLj3EEmmmmmmmmm.has_dyn_sized_stack, 0
	.set _ZL16k_get_rows_floatIf14__hip_bfloat16EvPKT_PKiPT0_ll15HIP_vector_typeIjLj3EEmmmmmmmmm.has_recursion, 0
	.set _ZL16k_get_rows_floatIf14__hip_bfloat16EvPKT_PKiPT0_ll15HIP_vector_typeIjLj3EEmmmmmmmmm.has_indirect_call, 0
	.section	.AMDGPU.csdata,"",@progbits
; Kernel info:
; codeLenInByte = 740
; TotalNumSgprs: 52
; NumVgprs: 18
; ScratchSize: 0
; MemoryBound: 0
; FloatMode: 240
; IeeeMode: 1
; LDSByteSize: 0 bytes/workgroup (compile time only)
; SGPRBlocks: 6
; VGPRBlocks: 4
; NumSGPRsForWavesPerEU: 52
; NumVGPRsForWavesPerEU: 18
; Occupancy: 10
; WaveLimiterHint : 1
; COMPUTE_PGM_RSRC2:SCRATCH_EN: 0
; COMPUTE_PGM_RSRC2:USER_SGPR: 6
; COMPUTE_PGM_RSRC2:TRAP_HANDLER: 0
; COMPUTE_PGM_RSRC2:TGID_X_EN: 1
; COMPUTE_PGM_RSRC2:TGID_Y_EN: 1
; COMPUTE_PGM_RSRC2:TGID_Z_EN: 1
; COMPUTE_PGM_RSRC2:TIDIG_COMP_CNT: 0
	.section	.text._ZL16k_get_rows_floatIi14__hip_bfloat16EvPKT_PKiPT0_ll15HIP_vector_typeIjLj3EEmmmmmmmmm,"axG",@progbits,_ZL16k_get_rows_floatIi14__hip_bfloat16EvPKT_PKiPT0_ll15HIP_vector_typeIjLj3EEmmmmmmmmm,comdat
	.globl	_ZL16k_get_rows_floatIi14__hip_bfloat16EvPKT_PKiPT0_ll15HIP_vector_typeIjLj3EEmmmmmmmmm ; -- Begin function _ZL16k_get_rows_floatIi14__hip_bfloat16EvPKT_PKiPT0_ll15HIP_vector_typeIjLj3EEmmmmmmmmm
	.p2align	8
	.type	_ZL16k_get_rows_floatIi14__hip_bfloat16EvPKT_PKiPT0_ll15HIP_vector_typeIjLj3EEmmmmmmmmm,@function
_ZL16k_get_rows_floatIi14__hip_bfloat16EvPKT_PKiPT0_ll15HIP_vector_typeIjLj3EEmmmmmmmmm: ; @_ZL16k_get_rows_floatIi14__hip_bfloat16EvPKT_PKiPT0_ll15HIP_vector_typeIjLj3EEmmmmmmmmm
; %bb.0:
	s_load_dwordx2 s[0:1], s[4:5], 0x20
	s_load_dwordx2 s[2:3], s[4:5], 0x2c
	s_mov_b32 s9, 0
	v_mov_b32_e32 v1, s8
	v_mov_b32_e32 v2, s9
	s_waitcnt lgkmcnt(0)
	s_mul_i32 s1, s1, s3
	s_mul_hi_u32 s10, s0, s3
	s_add_i32 s11, s10, s1
	s_mul_i32 s10, s0, s3
	v_cmp_le_i64_e32 vcc, s[10:11], v[1:2]
	s_cbranch_vccnz .LBB32_6
; %bb.1:
	s_load_dwordx8 s[36:43], s[4:5], 0x0
	s_load_dwordx2 s[28:29], s[4:5], 0x78
	s_load_dwordx2 s[30:31], s[4:5], 0x88
	s_load_dword s33, s[4:5], 0x28
	s_load_dwordx16 s[12:27], s[4:5], 0x38
	s_add_u32 s4, s4, 0x80
	s_addc_u32 s5, s5, 0
	s_waitcnt lgkmcnt(0)
	s_and_b32 s31, s31, 0xffff
	s_mul_i32 s7, s7, s31
	v_add_u32_e32 v0, s7, v0
	s_ashr_i32 s7, s6, 31
	s_mul_hi_u32 s34, s24, s6
	s_mul_i32 s35, s24, s7
	s_add_i32 s34, s34, s35
	s_mul_i32 s25, s25, s6
	s_add_i32 s25, s34, s25
	s_mul_i32 s24, s24, s6
	s_lshl_b64 s[24:25], s[24:25], 2
	s_add_u32 s44, s38, s24
	s_mul_hi_u32 s24, s12, s6
	s_mul_i32 s7, s12, s7
	s_addc_u32 s45, s39, s25
	s_add_i32 s7, s24, s7
	s_mul_i32 s13, s13, s6
	s_add_i32 s7, s7, s13
	s_mul_i32 s6, s12, s6
	v_mov_b32_e32 v1, 0
	s_lshl_b64 s[6:7], s[6:7], 1
	v_lshlrev_b64 v[2:3], 1, v[0:1]
	s_add_u32 s6, s40, s6
	s_addc_u32 s7, s41, s7
	v_mov_b32_e32 v4, s7
	v_add_co_u32_e32 v8, vcc, s6, v2
	v_addc_co_u32_e32 v9, vcc, v4, v3, vcc
	v_lshlrev_b64 v[2:3], 2, v[0:1]
	v_cmp_gt_i64_e64 s[0:1], s[42:43], v[0:1]
	v_mov_b32_e32 v4, s37
	v_add_co_u32_e32 v10, vcc, s36, v2
	s_lshl_b64 s[6:7], s[14:15], 1
	s_lshl_b64 s[12:13], s[16:17], 1
	v_addc_co_u32_e32 v11, vcc, v4, v3, vcc
	s_movk_i32 s40, 0x7fff
	s_mov_b64 s[14:15], s[8:9]
	s_branch .LBB32_3
.LBB32_2:                               ;   in Loop: Header=BB32_3 Depth=1
	s_or_b64 exec, exec, s[16:17]
	s_add_u32 s14, s14, s30
	v_mov_b32_e32 v2, s10
	s_addc_u32 s15, s15, 0
	v_mov_b32_e32 v3, s11
	v_cmp_lt_i64_e32 vcc, s[14:15], v[2:3]
	s_cbranch_vccz .LBB32_6
.LBB32_3:                               ; =>This Loop Header: Depth=1
                                        ;     Child Loop BB32_5 Depth 2
	s_and_saveexec_b64 s[16:17], s[0:1]
	s_cbranch_execz .LBB32_2
; %bb.4:                                ;   in Loop: Header=BB32_3 Depth=1
	s_mul_hi_u32 s8, s14, s33
	s_add_i32 s8, s8, s14
	s_lshr_b32 s36, s8, s2
	s_mul_i32 s8, s36, s3
	s_ashr_i32 s38, s36, 31
	s_sub_i32 s37, s14, s8
	s_mul_i32 s8, s26, s38
	s_mul_hi_u32 s24, s26, s36
	s_add_i32 s8, s24, s8
	s_mul_i32 s24, s27, s36
	s_ashr_i32 s39, s37, 31
	s_add_i32 s25, s8, s24
	s_mul_i32 s8, s28, s39
	s_mul_hi_u32 s34, s28, s37
	s_mul_i32 s24, s26, s36
	s_add_i32 s8, s34, s8
	s_mul_i32 s34, s29, s37
	s_add_i32 s35, s8, s34
	s_lshl_b64 s[24:25], s[24:25], 2
	s_mul_i32 s34, s28, s37
	s_add_u32 s8, s44, s24
	s_addc_u32 s41, s45, s25
	s_lshl_b64 s[24:25], s[34:35], 2
	s_load_dword s35, s[4:5], 0x4
	s_add_u32 s24, s8, s24
	s_mul_i32 s8, s20, s38
	s_mul_hi_u32 s34, s20, s36
	s_addc_u32 s25, s41, s25
	s_add_i32 s8, s34, s8
	s_mul_i32 s34, s21, s36
	s_add_i32 s41, s8, s34
	s_waitcnt lgkmcnt(0)
	s_mul_i32 s8, s35, s31
	s_mul_i32 s34, s6, s38
	s_mul_hi_u32 s35, s6, s36
	s_add_i32 s34, s35, s34
	s_mul_i32 s35, s7, s36
	s_mul_i32 s46, s20, s36
	s_add_i32 s34, s34, s35
	s_mul_i32 s35, s6, s36
	s_mul_i32 s36, s12, s39
	s_mul_hi_u32 s38, s12, s37
	s_add_i32 s36, s38, s36
	s_mul_i32 s38, s13, s37
	s_add_i32 s36, s36, s38
	s_mul_i32 s38, s12, s37
	s_add_u32 s35, s35, s38
	s_addc_u32 s34, s34, s36
	s_mul_i32 s36, s22, s39
	s_mul_hi_u32 s38, s22, s37
	s_add_i32 s36, s38, s36
	s_mul_i32 s38, s23, s37
	v_mov_b32_e32 v3, s34
	v_add_co_u32_e32 v2, vcc, s35, v8
	s_lshl_b64 s[34:35], s[8:9], 1
	s_add_i32 s36, s36, s38
	s_mul_i32 s37, s22, s37
	s_add_u32 s37, s46, s37
	v_addc_co_u32_e32 v3, vcc, v9, v3, vcc
	s_addc_u32 s36, s41, s36
	v_mov_b32_e32 v5, s36
	v_add_co_u32_e32 v4, vcc, s37, v10
	s_lshl_b64 s[36:37], s[8:9], 2
	v_mov_b32_e32 v7, v1
	v_addc_co_u32_e32 v5, vcc, v11, v5, vcc
	s_mov_b64 s[38:39], 0
	v_mov_b32_e32 v12, s35
	v_mov_b32_e32 v13, s37
	;; [unrolled: 1-line block ×3, first 2 shown]
.LBB32_5:                               ;   Parent Loop BB32_3 Depth=1
                                        ; =>  This Inner Loop Header: Depth=2
	global_load_dword v14, v1, s[24:25]
	v_add_co_u32_e32 v6, vcc, s8, v6
	v_addc_co_u32_e32 v7, vcc, 0, v7, vcc
	v_cmp_le_i64_e32 vcc, s[42:43], v[6:7]
	s_or_b64 s[38:39], vcc, s[38:39]
	s_waitcnt vmcnt(0)
	v_ashrrev_i32_e32 v16, 31, v14
	v_mul_lo_u32 v17, s19, v14
	v_mul_lo_u32 v16, s18, v16
	v_mad_u64_u32 v[14:15], s[46:47], s18, v14, v[4:5]
	v_add_co_u32_e32 v4, vcc, s36, v4
	v_add_u32_e32 v16, v16, v17
	v_add_u32_e32 v15, v16, v15
	global_load_dword v14, v[14:15], off
	v_addc_co_u32_e32 v5, vcc, v5, v13, vcc
	s_waitcnt vmcnt(0)
	v_cvt_f32_i32_e32 v14, v14
	v_bfe_u32 v15, v14, 16, 1
	v_or_b32_e32 v16, 0x400000, v14
	v_add3_u32 v15, v15, v14, s40
	v_cmp_u_f32_e32 vcc, v14, v14
	v_cndmask_b32_e32 v14, v15, v16, vcc
	global_store_short_d16_hi v[2:3], v14, off
	v_add_co_u32_e32 v2, vcc, s34, v2
	v_addc_co_u32_e32 v3, vcc, v3, v12, vcc
	s_andn2_b64 exec, exec, s[38:39]
	s_cbranch_execnz .LBB32_5
	s_branch .LBB32_2
.LBB32_6:
	s_endpgm
	.section	.rodata,"a",@progbits
	.p2align	6, 0x0
	.amdhsa_kernel _ZL16k_get_rows_floatIi14__hip_bfloat16EvPKT_PKiPT0_ll15HIP_vector_typeIjLj3EEmmmmmmmmm
		.amdhsa_group_segment_fixed_size 0
		.amdhsa_private_segment_fixed_size 0
		.amdhsa_kernarg_size 384
		.amdhsa_user_sgpr_count 6
		.amdhsa_user_sgpr_private_segment_buffer 1
		.amdhsa_user_sgpr_dispatch_ptr 0
		.amdhsa_user_sgpr_queue_ptr 0
		.amdhsa_user_sgpr_kernarg_segment_ptr 1
		.amdhsa_user_sgpr_dispatch_id 0
		.amdhsa_user_sgpr_flat_scratch_init 0
		.amdhsa_user_sgpr_private_segment_size 0
		.amdhsa_uses_dynamic_stack 0
		.amdhsa_system_sgpr_private_segment_wavefront_offset 0
		.amdhsa_system_sgpr_workgroup_id_x 1
		.amdhsa_system_sgpr_workgroup_id_y 1
		.amdhsa_system_sgpr_workgroup_id_z 1
		.amdhsa_system_sgpr_workgroup_info 0
		.amdhsa_system_vgpr_workitem_id 0
		.amdhsa_next_free_vgpr 18
		.amdhsa_next_free_sgpr 48
		.amdhsa_reserve_vcc 1
		.amdhsa_reserve_flat_scratch 0
		.amdhsa_float_round_mode_32 0
		.amdhsa_float_round_mode_16_64 0
		.amdhsa_float_denorm_mode_32 3
		.amdhsa_float_denorm_mode_16_64 3
		.amdhsa_dx10_clamp 1
		.amdhsa_ieee_mode 1
		.amdhsa_fp16_overflow 0
		.amdhsa_exception_fp_ieee_invalid_op 0
		.amdhsa_exception_fp_denorm_src 0
		.amdhsa_exception_fp_ieee_div_zero 0
		.amdhsa_exception_fp_ieee_overflow 0
		.amdhsa_exception_fp_ieee_underflow 0
		.amdhsa_exception_fp_ieee_inexact 0
		.amdhsa_exception_int_div_zero 0
	.end_amdhsa_kernel
	.section	.text._ZL16k_get_rows_floatIi14__hip_bfloat16EvPKT_PKiPT0_ll15HIP_vector_typeIjLj3EEmmmmmmmmm,"axG",@progbits,_ZL16k_get_rows_floatIi14__hip_bfloat16EvPKT_PKiPT0_ll15HIP_vector_typeIjLj3EEmmmmmmmmm,comdat
.Lfunc_end32:
	.size	_ZL16k_get_rows_floatIi14__hip_bfloat16EvPKT_PKiPT0_ll15HIP_vector_typeIjLj3EEmmmmmmmmm, .Lfunc_end32-_ZL16k_get_rows_floatIi14__hip_bfloat16EvPKT_PKiPT0_ll15HIP_vector_typeIjLj3EEmmmmmmmmm
                                        ; -- End function
	.set _ZL16k_get_rows_floatIi14__hip_bfloat16EvPKT_PKiPT0_ll15HIP_vector_typeIjLj3EEmmmmmmmmm.num_vgpr, 18
	.set _ZL16k_get_rows_floatIi14__hip_bfloat16EvPKT_PKiPT0_ll15HIP_vector_typeIjLj3EEmmmmmmmmm.num_agpr, 0
	.set _ZL16k_get_rows_floatIi14__hip_bfloat16EvPKT_PKiPT0_ll15HIP_vector_typeIjLj3EEmmmmmmmmm.numbered_sgpr, 48
	.set _ZL16k_get_rows_floatIi14__hip_bfloat16EvPKT_PKiPT0_ll15HIP_vector_typeIjLj3EEmmmmmmmmm.num_named_barrier, 0
	.set _ZL16k_get_rows_floatIi14__hip_bfloat16EvPKT_PKiPT0_ll15HIP_vector_typeIjLj3EEmmmmmmmmm.private_seg_size, 0
	.set _ZL16k_get_rows_floatIi14__hip_bfloat16EvPKT_PKiPT0_ll15HIP_vector_typeIjLj3EEmmmmmmmmm.uses_vcc, 1
	.set _ZL16k_get_rows_floatIi14__hip_bfloat16EvPKT_PKiPT0_ll15HIP_vector_typeIjLj3EEmmmmmmmmm.uses_flat_scratch, 0
	.set _ZL16k_get_rows_floatIi14__hip_bfloat16EvPKT_PKiPT0_ll15HIP_vector_typeIjLj3EEmmmmmmmmm.has_dyn_sized_stack, 0
	.set _ZL16k_get_rows_floatIi14__hip_bfloat16EvPKT_PKiPT0_ll15HIP_vector_typeIjLj3EEmmmmmmmmm.has_recursion, 0
	.set _ZL16k_get_rows_floatIi14__hip_bfloat16EvPKT_PKiPT0_ll15HIP_vector_typeIjLj3EEmmmmmmmmm.has_indirect_call, 0
	.section	.AMDGPU.csdata,"",@progbits
; Kernel info:
; codeLenInByte = 744
; TotalNumSgprs: 52
; NumVgprs: 18
; ScratchSize: 0
; MemoryBound: 0
; FloatMode: 240
; IeeeMode: 1
; LDSByteSize: 0 bytes/workgroup (compile time only)
; SGPRBlocks: 6
; VGPRBlocks: 4
; NumSGPRsForWavesPerEU: 52
; NumVGPRsForWavesPerEU: 18
; Occupancy: 10
; WaveLimiterHint : 1
; COMPUTE_PGM_RSRC2:SCRATCH_EN: 0
; COMPUTE_PGM_RSRC2:USER_SGPR: 6
; COMPUTE_PGM_RSRC2:TRAP_HANDLER: 0
; COMPUTE_PGM_RSRC2:TGID_X_EN: 1
; COMPUTE_PGM_RSRC2:TGID_Y_EN: 1
; COMPUTE_PGM_RSRC2:TGID_Z_EN: 1
; COMPUTE_PGM_RSRC2:TIDIG_COMP_CNT: 0
	.section	.text._ZL16k_get_rows_floatI14__hip_bfloat16S0_EvPKT_PKiPT0_ll15HIP_vector_typeIjLj3EEmmmmmmmmm,"axG",@progbits,_ZL16k_get_rows_floatI14__hip_bfloat16S0_EvPKT_PKiPT0_ll15HIP_vector_typeIjLj3EEmmmmmmmmm,comdat
	.globl	_ZL16k_get_rows_floatI14__hip_bfloat16S0_EvPKT_PKiPT0_ll15HIP_vector_typeIjLj3EEmmmmmmmmm ; -- Begin function _ZL16k_get_rows_floatI14__hip_bfloat16S0_EvPKT_PKiPT0_ll15HIP_vector_typeIjLj3EEmmmmmmmmm
	.p2align	8
	.type	_ZL16k_get_rows_floatI14__hip_bfloat16S0_EvPKT_PKiPT0_ll15HIP_vector_typeIjLj3EEmmmmmmmmm,@function
_ZL16k_get_rows_floatI14__hip_bfloat16S0_EvPKT_PKiPT0_ll15HIP_vector_typeIjLj3EEmmmmmmmmm: ; @_ZL16k_get_rows_floatI14__hip_bfloat16S0_EvPKT_PKiPT0_ll15HIP_vector_typeIjLj3EEmmmmmmmmm
; %bb.0:
	s_load_dwordx2 s[0:1], s[4:5], 0x20
	s_load_dwordx2 s[2:3], s[4:5], 0x2c
	s_mov_b32 s9, 0
	v_mov_b32_e32 v1, s8
	v_mov_b32_e32 v2, s9
	s_waitcnt lgkmcnt(0)
	s_mul_i32 s1, s1, s3
	s_mul_hi_u32 s10, s0, s3
	s_add_i32 s31, s10, s1
	s_mul_i32 s30, s0, s3
	v_cmp_le_i64_e32 vcc, s[30:31], v[1:2]
	s_cbranch_vccnz .LBB33_6
; %bb.1:
	s_load_dwordx8 s[36:43], s[4:5], 0x0
	s_load_dwordx2 s[10:11], s[4:5], 0x78
	s_load_dwordx2 s[28:29], s[4:5], 0x88
	s_load_dword s33, s[4:5], 0x28
	s_load_dwordx16 s[12:27], s[4:5], 0x38
	s_add_u32 s4, s4, 0x80
	s_addc_u32 s5, s5, 0
	s_waitcnt lgkmcnt(0)
	s_and_b32 s29, s29, 0xffff
	s_mul_i32 s7, s7, s29
	v_add_u32_e32 v0, s7, v0
	s_ashr_i32 s7, s6, 31
	s_mul_hi_u32 s34, s24, s6
	s_mul_i32 s35, s24, s7
	s_add_i32 s34, s34, s35
	s_mul_i32 s25, s25, s6
	s_add_i32 s25, s34, s25
	s_mul_i32 s24, s24, s6
	s_lshl_b64 s[24:25], s[24:25], 2
	s_add_u32 s38, s38, s24
	s_mul_hi_u32 s24, s12, s6
	s_mul_i32 s7, s12, s7
	s_addc_u32 s39, s39, s25
	s_add_i32 s7, s24, s7
	s_mul_i32 s13, s13, s6
	s_add_i32 s7, s7, s13
	s_mul_i32 s6, s12, s6
	v_mov_b32_e32 v1, 0
	s_lshl_b64 s[6:7], s[6:7], 1
	v_lshlrev_b64 v[2:3], 1, v[0:1]
	s_add_u32 s6, s40, s6
	s_addc_u32 s7, s41, s7
	v_mov_b32_e32 v4, s7
	v_add_co_u32_e32 v6, vcc, s6, v2
	v_addc_co_u32_e32 v7, vcc, v4, v3, vcc
	v_mov_b32_e32 v4, s37
	v_add_co_u32_e32 v8, vcc, s36, v2
	v_cmp_gt_i64_e64 s[0:1], s[42:43], v[0:1]
	v_addc_co_u32_e32 v9, vcc, v4, v3, vcc
	v_mov_b32_e32 v2, s30
	s_lshl_b64 s[6:7], s[14:15], 1
	s_lshl_b64 s[12:13], s[16:17], 1
	v_mov_b32_e32 v3, s31
	s_mov_b64 s[14:15], s[8:9]
	s_branch .LBB33_3
.LBB33_2:                               ;   in Loop: Header=BB33_3 Depth=1
	s_or_b64 exec, exec, s[16:17]
	s_add_u32 s14, s14, s28
	s_addc_u32 s15, s15, 0
	v_cmp_lt_i64_e32 vcc, s[14:15], v[2:3]
	s_cbranch_vccz .LBB33_6
.LBB33_3:                               ; =>This Loop Header: Depth=1
                                        ;     Child Loop BB33_5 Depth 2
	s_and_saveexec_b64 s[16:17], s[0:1]
	s_cbranch_execz .LBB33_2
; %bb.4:                                ;   in Loop: Header=BB33_3 Depth=1
	s_mul_hi_u32 s8, s14, s33
	s_add_i32 s8, s8, s14
	s_lshr_b32 s34, s8, s2
	s_mul_i32 s8, s34, s3
	s_ashr_i32 s36, s34, 31
	s_sub_i32 s35, s14, s8
	s_mul_i32 s8, s26, s36
	s_mul_hi_u32 s24, s26, s34
	s_add_i32 s8, s24, s8
	s_mul_i32 s24, s27, s34
	s_ashr_i32 s37, s35, 31
	s_add_i32 s25, s8, s24
	s_mul_i32 s8, s10, s37
	s_mul_hi_u32 s30, s10, s35
	s_mul_i32 s24, s26, s34
	s_add_i32 s8, s30, s8
	s_mul_i32 s30, s11, s35
	s_add_i32 s31, s8, s30
	s_lshl_b64 s[24:25], s[24:25], 2
	s_mul_i32 s30, s10, s35
	s_add_u32 s8, s38, s24
	s_addc_u32 s40, s39, s25
	s_lshl_b64 s[24:25], s[30:31], 2
	s_load_dword s31, s[4:5], 0x4
	s_add_u32 s24, s8, s24
	s_mul_i32 s8, s20, s36
	s_mul_hi_u32 s30, s20, s34
	s_addc_u32 s25, s40, s25
	s_add_i32 s8, s30, s8
	s_mul_i32 s30, s21, s34
	s_add_i32 s40, s8, s30
	s_waitcnt lgkmcnt(0)
	s_mul_i32 s8, s31, s29
	s_mul_i32 s30, s6, s36
	s_mul_hi_u32 s31, s6, s34
	s_add_i32 s30, s31, s30
	s_mul_i32 s31, s7, s34
	s_mul_i32 s41, s20, s34
	s_add_i32 s30, s30, s31
	s_mul_i32 s31, s6, s34
	s_mul_i32 s34, s12, s37
	s_mul_hi_u32 s36, s12, s35
	s_add_i32 s34, s36, s34
	s_mul_i32 s36, s13, s35
	s_add_i32 s34, s34, s36
	s_mul_i32 s36, s12, s35
	s_add_u32 s31, s31, s36
	s_addc_u32 s30, s30, s34
	s_mul_i32 s34, s22, s37
	s_mul_hi_u32 s36, s22, s35
	s_add_i32 s34, s36, s34
	s_mul_i32 s36, s23, s35
	v_mov_b32_e32 v4, s30
	v_add_co_u32_e32 v10, vcc, s31, v6
	s_lshl_b64 s[30:31], s[8:9], 1
	s_add_i32 s34, s34, s36
	s_mul_i32 s35, s22, s35
	s_add_u32 s35, s41, s35
	v_addc_co_u32_e32 v11, vcc, v7, v4, vcc
	s_addc_u32 s34, s40, s34
	v_mov_b32_e32 v4, s34
	v_add_co_u32_e32 v12, vcc, s35, v8
	v_addc_co_u32_e32 v13, vcc, v9, v4, vcc
	v_mov_b32_e32 v5, v1
	s_mov_b64 s[34:35], 0
	s_mov_b64 s[36:37], 0
	v_mov_b32_e32 v4, v0
.LBB33_5:                               ;   Parent Loop BB33_3 Depth=1
                                        ; =>  This Inner Loop Header: Depth=2
	global_load_dword v14, v1, s[24:25]
	v_mov_b32_e32 v15, s37
	s_waitcnt vmcnt(0)
	v_ashrrev_i32_e32 v16, 31, v14
	v_mul_hi_u32 v17, s18, v14
	v_mul_lo_u32 v16, s18, v16
	v_mul_lo_u32 v18, s19, v14
	;; [unrolled: 1-line block ×3, first 2 shown]
	v_add_u32_e32 v16, v17, v16
	v_add_u32_e32 v16, v16, v18
	v_add_co_u32_e32 v14, vcc, s36, v14
	v_addc_co_u32_e32 v15, vcc, v15, v16, vcc
	v_add_co_u32_e32 v14, vcc, v12, v14
	v_addc_co_u32_e32 v15, vcc, v13, v15, vcc
	global_load_ushort v16, v[14:15], off
	v_add_co_u32_e32 v4, vcc, s8, v4
	v_addc_co_u32_e32 v5, vcc, 0, v5, vcc
	v_mov_b32_e32 v15, s37
	v_add_co_u32_e32 v14, vcc, s36, v10
	v_addc_co_u32_e32 v15, vcc, v11, v15, vcc
	v_cmp_le_i64_e32 vcc, s[42:43], v[4:5]
	s_add_u32 s36, s36, s30
	s_addc_u32 s37, s37, s31
	s_or_b64 s[34:35], vcc, s[34:35]
	s_waitcnt vmcnt(0)
	global_store_short v[14:15], v16, off
	s_andn2_b64 exec, exec, s[34:35]
	s_cbranch_execnz .LBB33_5
	s_branch .LBB33_2
.LBB33_6:
	s_endpgm
	.section	.rodata,"a",@progbits
	.p2align	6, 0x0
	.amdhsa_kernel _ZL16k_get_rows_floatI14__hip_bfloat16S0_EvPKT_PKiPT0_ll15HIP_vector_typeIjLj3EEmmmmmmmmm
		.amdhsa_group_segment_fixed_size 0
		.amdhsa_private_segment_fixed_size 0
		.amdhsa_kernarg_size 384
		.amdhsa_user_sgpr_count 6
		.amdhsa_user_sgpr_private_segment_buffer 1
		.amdhsa_user_sgpr_dispatch_ptr 0
		.amdhsa_user_sgpr_queue_ptr 0
		.amdhsa_user_sgpr_kernarg_segment_ptr 1
		.amdhsa_user_sgpr_dispatch_id 0
		.amdhsa_user_sgpr_flat_scratch_init 0
		.amdhsa_user_sgpr_private_segment_size 0
		.amdhsa_uses_dynamic_stack 0
		.amdhsa_system_sgpr_private_segment_wavefront_offset 0
		.amdhsa_system_sgpr_workgroup_id_x 1
		.amdhsa_system_sgpr_workgroup_id_y 1
		.amdhsa_system_sgpr_workgroup_id_z 1
		.amdhsa_system_sgpr_workgroup_info 0
		.amdhsa_system_vgpr_workitem_id 0
		.amdhsa_next_free_vgpr 19
		.amdhsa_next_free_sgpr 44
		.amdhsa_reserve_vcc 1
		.amdhsa_reserve_flat_scratch 0
		.amdhsa_float_round_mode_32 0
		.amdhsa_float_round_mode_16_64 0
		.amdhsa_float_denorm_mode_32 3
		.amdhsa_float_denorm_mode_16_64 3
		.amdhsa_dx10_clamp 1
		.amdhsa_ieee_mode 1
		.amdhsa_fp16_overflow 0
		.amdhsa_exception_fp_ieee_invalid_op 0
		.amdhsa_exception_fp_denorm_src 0
		.amdhsa_exception_fp_ieee_div_zero 0
		.amdhsa_exception_fp_ieee_overflow 0
		.amdhsa_exception_fp_ieee_underflow 0
		.amdhsa_exception_fp_ieee_inexact 0
		.amdhsa_exception_int_div_zero 0
	.end_amdhsa_kernel
	.section	.text._ZL16k_get_rows_floatI14__hip_bfloat16S0_EvPKT_PKiPT0_ll15HIP_vector_typeIjLj3EEmmmmmmmmm,"axG",@progbits,_ZL16k_get_rows_floatI14__hip_bfloat16S0_EvPKT_PKiPT0_ll15HIP_vector_typeIjLj3EEmmmmmmmmm,comdat
.Lfunc_end33:
	.size	_ZL16k_get_rows_floatI14__hip_bfloat16S0_EvPKT_PKiPT0_ll15HIP_vector_typeIjLj3EEmmmmmmmmm, .Lfunc_end33-_ZL16k_get_rows_floatI14__hip_bfloat16S0_EvPKT_PKiPT0_ll15HIP_vector_typeIjLj3EEmmmmmmmmm
                                        ; -- End function
	.set _ZL16k_get_rows_floatI14__hip_bfloat16S0_EvPKT_PKiPT0_ll15HIP_vector_typeIjLj3EEmmmmmmmmm.num_vgpr, 19
	.set _ZL16k_get_rows_floatI14__hip_bfloat16S0_EvPKT_PKiPT0_ll15HIP_vector_typeIjLj3EEmmmmmmmmm.num_agpr, 0
	.set _ZL16k_get_rows_floatI14__hip_bfloat16S0_EvPKT_PKiPT0_ll15HIP_vector_typeIjLj3EEmmmmmmmmm.numbered_sgpr, 44
	.set _ZL16k_get_rows_floatI14__hip_bfloat16S0_EvPKT_PKiPT0_ll15HIP_vector_typeIjLj3EEmmmmmmmmm.num_named_barrier, 0
	.set _ZL16k_get_rows_floatI14__hip_bfloat16S0_EvPKT_PKiPT0_ll15HIP_vector_typeIjLj3EEmmmmmmmmm.private_seg_size, 0
	.set _ZL16k_get_rows_floatI14__hip_bfloat16S0_EvPKT_PKiPT0_ll15HIP_vector_typeIjLj3EEmmmmmmmmm.uses_vcc, 1
	.set _ZL16k_get_rows_floatI14__hip_bfloat16S0_EvPKT_PKiPT0_ll15HIP_vector_typeIjLj3EEmmmmmmmmm.uses_flat_scratch, 0
	.set _ZL16k_get_rows_floatI14__hip_bfloat16S0_EvPKT_PKiPT0_ll15HIP_vector_typeIjLj3EEmmmmmmmmm.has_dyn_sized_stack, 0
	.set _ZL16k_get_rows_floatI14__hip_bfloat16S0_EvPKT_PKiPT0_ll15HIP_vector_typeIjLj3EEmmmmmmmmm.has_recursion, 0
	.set _ZL16k_get_rows_floatI14__hip_bfloat16S0_EvPKT_PKiPT0_ll15HIP_vector_typeIjLj3EEmmmmmmmmm.has_indirect_call, 0
	.section	.AMDGPU.csdata,"",@progbits
; Kernel info:
; codeLenInByte = 720
; TotalNumSgprs: 48
; NumVgprs: 19
; ScratchSize: 0
; MemoryBound: 0
; FloatMode: 240
; IeeeMode: 1
; LDSByteSize: 0 bytes/workgroup (compile time only)
; SGPRBlocks: 5
; VGPRBlocks: 4
; NumSGPRsForWavesPerEU: 48
; NumVGPRsForWavesPerEU: 19
; Occupancy: 10
; WaveLimiterHint : 1
; COMPUTE_PGM_RSRC2:SCRATCH_EN: 0
; COMPUTE_PGM_RSRC2:USER_SGPR: 6
; COMPUTE_PGM_RSRC2:TRAP_HANDLER: 0
; COMPUTE_PGM_RSRC2:TGID_X_EN: 1
; COMPUTE_PGM_RSRC2:TGID_Y_EN: 1
; COMPUTE_PGM_RSRC2:TGID_Z_EN: 1
; COMPUTE_PGM_RSRC2:TIDIG_COMP_CNT: 0
	.section	.text._ZL10k_get_rowsILi128ELi1EXadL_ZL15dequantize_q1_0PKvliR15HIP_vector_typeIfLj2EEEE14__hip_bfloat16EvS1_PKiPT2_llS2_IjLj3EEmmmmmmmmm,"axG",@progbits,_ZL10k_get_rowsILi128ELi1EXadL_ZL15dequantize_q1_0PKvliR15HIP_vector_typeIfLj2EEEE14__hip_bfloat16EvS1_PKiPT2_llS2_IjLj3EEmmmmmmmmm,comdat
	.globl	_ZL10k_get_rowsILi128ELi1EXadL_ZL15dequantize_q1_0PKvliR15HIP_vector_typeIfLj2EEEE14__hip_bfloat16EvS1_PKiPT2_llS2_IjLj3EEmmmmmmmmm ; -- Begin function _ZL10k_get_rowsILi128ELi1EXadL_ZL15dequantize_q1_0PKvliR15HIP_vector_typeIfLj2EEEE14__hip_bfloat16EvS1_PKiPT2_llS2_IjLj3EEmmmmmmmmm
	.p2align	8
	.type	_ZL10k_get_rowsILi128ELi1EXadL_ZL15dequantize_q1_0PKvliR15HIP_vector_typeIfLj2EEEE14__hip_bfloat16EvS1_PKiPT2_llS2_IjLj3EEmmmmmmmmm,@function
_ZL10k_get_rowsILi128ELi1EXadL_ZL15dequantize_q1_0PKvliR15HIP_vector_typeIfLj2EEEE14__hip_bfloat16EvS1_PKiPT2_llS2_IjLj3EEmmmmmmmmm: ; @_ZL10k_get_rowsILi128ELi1EXadL_ZL15dequantize_q1_0PKvliR15HIP_vector_typeIfLj2EEEE14__hip_bfloat16EvS1_PKiPT2_llS2_IjLj3EEmmmmmmmmm
; %bb.0:
	s_load_dwordx4 s[28:31], s[4:5], 0x18
	s_load_dwordx2 s[10:11], s[4:5], 0x2c
	s_mov_b32 s9, 0
	v_mov_b32_e32 v1, s8
	v_mov_b32_e32 v2, s9
	s_waitcnt lgkmcnt(0)
	s_mul_i32 s0, s31, s11
	s_mul_hi_u32 s1, s30, s11
	s_add_i32 s31, s1, s0
	s_mul_i32 s30, s30, s11
	v_cmp_le_i64_e32 vcc, s[30:31], v[1:2]
	s_cbranch_vccnz .LBB34_6
; %bb.1:
	s_load_dwordx4 s[36:39], s[4:5], 0x0
	s_load_dwordx2 s[2:3], s[4:5], 0x10
	s_load_dwordx2 s[34:35], s[4:5], 0x78
	;; [unrolled: 1-line block ×3, first 2 shown]
	s_load_dword s33, s[4:5], 0x28
	s_load_dwordx16 s[12:27], s[4:5], 0x38
	s_add_u32 s4, s4, 0x80
	s_addc_u32 s5, s5, 0
	s_waitcnt lgkmcnt(0)
	s_and_b32 s41, s41, 0xffff
	s_mul_i32 s7, s7, s41
	v_add_lshl_u32 v0, s7, v0, 1
	s_ashr_i32 s7, s6, 31
	s_mul_hi_u32 s42, s24, s6
	s_mul_i32 s43, s24, s7
	s_add_i32 s42, s42, s43
	s_mul_i32 s25, s25, s6
	s_add_i32 s25, s42, s25
	s_mul_i32 s24, s24, s6
	s_lshl_b64 s[24:25], s[24:25], 2
	s_add_u32 s44, s38, s24
	s_mul_hi_u32 s24, s12, s6
	s_mul_i32 s7, s12, s7
	s_addc_u32 s45, s39, s25
	s_add_i32 s7, s24, s7
	s_mul_i32 s13, s13, s6
	s_add_i32 s7, s7, s13
	s_mul_i32 s6, s12, s6
	v_mov_b32_e32 v1, 0
	s_lshl_b64 s[6:7], s[6:7], 1
	v_cmp_gt_i64_e64 s[0:1], s[28:29], v[0:1]
	s_add_u32 s46, s2, s6
	v_lshlrev_b64 v[2:3], 25, v[0:1]
	s_addc_u32 s47, s3, s7
	v_mov_b32_e32 v4, v1
	v_mov_b32_e32 v5, v0
	s_movk_i32 s48, 0x7fff
	s_mov_b32 s49, 0x7060302
	s_mov_b64 s[6:7], s[8:9]
	s_branch .LBB34_3
.LBB34_2:                               ;   in Loop: Header=BB34_3 Depth=1
	s_or_b64 exec, exec, s[12:13]
	s_add_u32 s6, s6, s40
	v_mov_b32_e32 v6, s30
	s_addc_u32 s7, s7, 0
	v_mov_b32_e32 v7, s31
	v_cmp_ge_i64_e32 vcc, s[6:7], v[6:7]
	s_cbranch_vccnz .LBB34_6
.LBB34_3:                               ; =>This Loop Header: Depth=1
                                        ;     Child Loop BB34_5 Depth 2
	s_and_saveexec_b64 s[12:13], s[0:1]
	s_cbranch_execz .LBB34_2
; %bb.4:                                ;   in Loop: Header=BB34_3 Depth=1
	s_mul_hi_u32 s2, s6, s33
	s_add_i32 s2, s2, s6
	s_lshr_b32 s8, s2, s10
	s_mul_i32 s2, s8, s11
	s_sub_i32 s38, s6, s2
	s_ashr_i32 s39, s8, 31
	s_mul_i32 s2, s26, s39
	s_mul_hi_u32 s3, s26, s8
	s_ashr_i32 s42, s38, 31
	s_add_i32 s2, s3, s2
	s_mul_i32 s3, s27, s8
	s_mul_i32 s24, s34, s42
	s_mul_hi_u32 s25, s34, s38
	s_add_i32 s3, s2, s3
	s_mul_i32 s2, s26, s8
	s_add_i32 s24, s25, s24
	s_mul_i32 s25, s35, s38
	s_add_i32 s25, s24, s25
	s_lshl_b64 s[2:3], s[2:3], 2
	s_mul_i32 s24, s34, s38
	s_add_u32 s43, s44, s2
	s_addc_u32 s50, s45, s3
	s_lshl_b64 s[2:3], s[24:25], 2
	s_add_u32 s2, s43, s2
	s_addc_u32 s3, s50, s3
	s_load_dword s24, s[2:3], 0x0
	s_mul_i32 s2, s14, s39
	s_mul_hi_u32 s3, s14, s8
	s_add_i32 s2, s3, s2
	s_mul_i32 s3, s15, s8
	s_add_i32 s3, s2, s3
	s_mul_i32 s2, s14, s8
	s_waitcnt lgkmcnt(0)
	s_ashr_i32 s25, s24, 31
	s_lshl_b64 s[2:3], s[2:3], 1
	s_add_u32 s43, s46, s2
	s_addc_u32 s51, s47, s3
	s_mul_i32 s2, s16, s42
	s_mul_hi_u32 s3, s16, s38
	s_add_i32 s2, s3, s2
	s_mul_i32 s3, s17, s38
	s_add_i32 s3, s2, s3
	s_mul_i32 s2, s16, s38
	s_lshl_b64 s[2:3], s[2:3], 1
	s_add_u32 s50, s43, s2
	s_addc_u32 s2, s51, s3
	s_mul_i32 s3, s18, s25
	s_mul_hi_u32 s25, s18, s24
	s_add_i32 s3, s25, s3
	s_mul_i32 s25, s19, s24
	s_add_i32 s3, s3, s25
	s_mul_i32 s24, s18, s24
	s_add_u32 s24, s36, s24
	s_mul_i32 s25, s20, s39
	s_mul_hi_u32 s39, s20, s8
	s_addc_u32 s3, s37, s3
	s_add_i32 s25, s39, s25
	s_mul_i32 s39, s21, s8
	s_add_i32 s25, s25, s39
	s_mul_i32 s8, s20, s8
	s_load_dword s39, s[4:5], 0x4
	s_add_u32 s8, s24, s8
	s_addc_u32 s3, s3, s25
	s_mul_i32 s24, s22, s42
	s_mul_hi_u32 s25, s22, s38
	s_add_i32 s24, s25, s24
	s_mul_i32 s25, s23, s38
	s_add_i32 s25, s24, s25
	s_mul_i32 s24, s22, s38
	s_add_u32 s24, s8, s24
	s_waitcnt lgkmcnt(0)
	s_mul_i32 s8, s39, s41
	s_addc_u32 s25, s3, s25
	s_lshl_b64 s[38:39], s[8:9], 25
	v_mov_b32_e32 v7, v5
	v_mov_b32_e32 v9, v3
	;; [unrolled: 1-line block ×3, first 2 shown]
	s_mov_b64 s[42:43], 0
	v_mov_b32_e32 v12, s2
	v_mov_b32_e32 v13, s39
	;; [unrolled: 1-line block ×6, first 2 shown]
.LBB34_5:                               ;   Parent Loop BB34_3 Depth=1
                                        ; =>  This Inner Loop Header: Depth=2
	v_mad_i64_i32 v[15:16], s[2:3], v9, 18, s[24:25]
	v_and_b32_e32 v17, 0x7f, v10
	v_bfe_u32 v18, v10, 3, 4
	v_add_u32_e32 v21, 1, v17
	v_add_co_u32_e32 v17, vcc, v15, v18
	v_lshrrev_b32_e32 v19, 3, v21
	v_addc_co_u32_e32 v18, vcc, 0, v16, vcc
	v_add_co_u32_e32 v19, vcc, v15, v19
	v_addc_co_u32_e32 v20, vcc, 0, v16, vcc
	global_load_ushort v22, v[15:16], off
	global_load_ubyte v23, v[17:18], off offset:2
	global_load_ubyte v24, v[19:20], off offset:2
	v_and_b32_e32 v17, 7, v10
	v_and_b32_e32 v18, 7, v21
	v_add_co_u32_e32 v10, vcc, s8, v10
	v_addc_co_u32_e32 v11, vcc, 0, v11, vcc
	v_add_co_u32_e32 v8, vcc, s38, v8
	v_addc_co_u32_e32 v9, vcc, v9, v13, vcc
	v_ashrrev_i64 v[15:16], 31, v[6:7]
	v_add_co_u32_e32 v6, vcc, 0, v6
	v_addc_co_u32_e32 v7, vcc, v7, v14, vcc
	v_cmp_le_i64_e32 vcc, s[28:29], v[10:11]
	v_add_co_u32_e64 v15, s[2:3], s50, v15
	v_addc_co_u32_e64 v16, s[2:3], v12, v16, s[2:3]
	s_or_b64 s[42:43], vcc, s[42:43]
	s_waitcnt vmcnt(2)
	v_cvt_f32_f16_e32 v19, v22
	s_waitcnt vmcnt(1)
	v_lshrrev_b32_e32 v17, v17, v23
	s_waitcnt vmcnt(0)
	v_lshrrev_b32_e32 v18, v18, v24
	v_lshlrev_b32_e32 v17, 1, v17
	v_lshlrev_b32_e32 v18, 1, v18
	v_and_b32_e32 v17, 2, v17
	v_and_b32_e32 v18, 2, v18
	v_add_u32_e32 v17, -1, v17
	v_add_u32_e32 v18, -1, v18
	v_cvt_f32_i32_e32 v17, v17
	v_cvt_f32_i32_e32 v18, v18
	v_mul_f32_e32 v17, v19, v17
	v_mul_f32_e32 v18, v19, v18
	v_bfe_u32 v19, v17, 16, 1
	v_bfe_u32 v21, v18, 16, 1
	v_or_b32_e32 v20, 0x400000, v17
	v_or_b32_e32 v22, 0x400000, v18
	v_add3_u32 v19, v19, v17, s48
	v_add3_u32 v21, v21, v18, s48
	v_cmp_u_f32_e32 vcc, v18, v18
	v_cmp_u_f32_e64 s[2:3], v17, v17
	v_cndmask_b32_e64 v17, v19, v20, s[2:3]
	v_cndmask_b32_e32 v18, v21, v22, vcc
	v_perm_b32 v17, v18, v17, s49
	global_store_dword v[15:16], v17, off
	s_andn2_b64 exec, exec, s[42:43]
	s_cbranch_execnz .LBB34_5
	s_branch .LBB34_2
.LBB34_6:
	s_endpgm
	.section	.rodata,"a",@progbits
	.p2align	6, 0x0
	.amdhsa_kernel _ZL10k_get_rowsILi128ELi1EXadL_ZL15dequantize_q1_0PKvliR15HIP_vector_typeIfLj2EEEE14__hip_bfloat16EvS1_PKiPT2_llS2_IjLj3EEmmmmmmmmm
		.amdhsa_group_segment_fixed_size 0
		.amdhsa_private_segment_fixed_size 0
		.amdhsa_kernarg_size 384
		.amdhsa_user_sgpr_count 6
		.amdhsa_user_sgpr_private_segment_buffer 1
		.amdhsa_user_sgpr_dispatch_ptr 0
		.amdhsa_user_sgpr_queue_ptr 0
		.amdhsa_user_sgpr_kernarg_segment_ptr 1
		.amdhsa_user_sgpr_dispatch_id 0
		.amdhsa_user_sgpr_flat_scratch_init 0
		.amdhsa_user_sgpr_private_segment_size 0
		.amdhsa_uses_dynamic_stack 0
		.amdhsa_system_sgpr_private_segment_wavefront_offset 0
		.amdhsa_system_sgpr_workgroup_id_x 1
		.amdhsa_system_sgpr_workgroup_id_y 1
		.amdhsa_system_sgpr_workgroup_id_z 1
		.amdhsa_system_sgpr_workgroup_info 0
		.amdhsa_system_vgpr_workitem_id 0
		.amdhsa_next_free_vgpr 25
		.amdhsa_next_free_sgpr 52
		.amdhsa_reserve_vcc 1
		.amdhsa_reserve_flat_scratch 0
		.amdhsa_float_round_mode_32 0
		.amdhsa_float_round_mode_16_64 0
		.amdhsa_float_denorm_mode_32 3
		.amdhsa_float_denorm_mode_16_64 3
		.amdhsa_dx10_clamp 1
		.amdhsa_ieee_mode 1
		.amdhsa_fp16_overflow 0
		.amdhsa_exception_fp_ieee_invalid_op 0
		.amdhsa_exception_fp_denorm_src 0
		.amdhsa_exception_fp_ieee_div_zero 0
		.amdhsa_exception_fp_ieee_overflow 0
		.amdhsa_exception_fp_ieee_underflow 0
		.amdhsa_exception_fp_ieee_inexact 0
		.amdhsa_exception_int_div_zero 0
	.end_amdhsa_kernel
	.section	.text._ZL10k_get_rowsILi128ELi1EXadL_ZL15dequantize_q1_0PKvliR15HIP_vector_typeIfLj2EEEE14__hip_bfloat16EvS1_PKiPT2_llS2_IjLj3EEmmmmmmmmm,"axG",@progbits,_ZL10k_get_rowsILi128ELi1EXadL_ZL15dequantize_q1_0PKvliR15HIP_vector_typeIfLj2EEEE14__hip_bfloat16EvS1_PKiPT2_llS2_IjLj3EEmmmmmmmmm,comdat
.Lfunc_end34:
	.size	_ZL10k_get_rowsILi128ELi1EXadL_ZL15dequantize_q1_0PKvliR15HIP_vector_typeIfLj2EEEE14__hip_bfloat16EvS1_PKiPT2_llS2_IjLj3EEmmmmmmmmm, .Lfunc_end34-_ZL10k_get_rowsILi128ELi1EXadL_ZL15dequantize_q1_0PKvliR15HIP_vector_typeIfLj2EEEE14__hip_bfloat16EvS1_PKiPT2_llS2_IjLj3EEmmmmmmmmm
                                        ; -- End function
	.set _ZL10k_get_rowsILi128ELi1EXadL_ZL15dequantize_q1_0PKvliR15HIP_vector_typeIfLj2EEEE14__hip_bfloat16EvS1_PKiPT2_llS2_IjLj3EEmmmmmmmmm.num_vgpr, 25
	.set _ZL10k_get_rowsILi128ELi1EXadL_ZL15dequantize_q1_0PKvliR15HIP_vector_typeIfLj2EEEE14__hip_bfloat16EvS1_PKiPT2_llS2_IjLj3EEmmmmmmmmm.num_agpr, 0
	.set _ZL10k_get_rowsILi128ELi1EXadL_ZL15dequantize_q1_0PKvliR15HIP_vector_typeIfLj2EEEE14__hip_bfloat16EvS1_PKiPT2_llS2_IjLj3EEmmmmmmmmm.numbered_sgpr, 52
	.set _ZL10k_get_rowsILi128ELi1EXadL_ZL15dequantize_q1_0PKvliR15HIP_vector_typeIfLj2EEEE14__hip_bfloat16EvS1_PKiPT2_llS2_IjLj3EEmmmmmmmmm.num_named_barrier, 0
	.set _ZL10k_get_rowsILi128ELi1EXadL_ZL15dequantize_q1_0PKvliR15HIP_vector_typeIfLj2EEEE14__hip_bfloat16EvS1_PKiPT2_llS2_IjLj3EEmmmmmmmmm.private_seg_size, 0
	.set _ZL10k_get_rowsILi128ELi1EXadL_ZL15dequantize_q1_0PKvliR15HIP_vector_typeIfLj2EEEE14__hip_bfloat16EvS1_PKiPT2_llS2_IjLj3EEmmmmmmmmm.uses_vcc, 1
	.set _ZL10k_get_rowsILi128ELi1EXadL_ZL15dequantize_q1_0PKvliR15HIP_vector_typeIfLj2EEEE14__hip_bfloat16EvS1_PKiPT2_llS2_IjLj3EEmmmmmmmmm.uses_flat_scratch, 0
	.set _ZL10k_get_rowsILi128ELi1EXadL_ZL15dequantize_q1_0PKvliR15HIP_vector_typeIfLj2EEEE14__hip_bfloat16EvS1_PKiPT2_llS2_IjLj3EEmmmmmmmmm.has_dyn_sized_stack, 0
	.set _ZL10k_get_rowsILi128ELi1EXadL_ZL15dequantize_q1_0PKvliR15HIP_vector_typeIfLj2EEEE14__hip_bfloat16EvS1_PKiPT2_llS2_IjLj3EEmmmmmmmmm.has_recursion, 0
	.set _ZL10k_get_rowsILi128ELi1EXadL_ZL15dequantize_q1_0PKvliR15HIP_vector_typeIfLj2EEEE14__hip_bfloat16EvS1_PKiPT2_llS2_IjLj3EEmmmmmmmmm.has_indirect_call, 0
	.section	.AMDGPU.csdata,"",@progbits
; Kernel info:
; codeLenInByte = 948
; TotalNumSgprs: 56
; NumVgprs: 25
; ScratchSize: 0
; MemoryBound: 0
; FloatMode: 240
; IeeeMode: 1
; LDSByteSize: 0 bytes/workgroup (compile time only)
; SGPRBlocks: 6
; VGPRBlocks: 6
; NumSGPRsForWavesPerEU: 56
; NumVGPRsForWavesPerEU: 25
; Occupancy: 9
; WaveLimiterHint : 1
; COMPUTE_PGM_RSRC2:SCRATCH_EN: 0
; COMPUTE_PGM_RSRC2:USER_SGPR: 6
; COMPUTE_PGM_RSRC2:TRAP_HANDLER: 0
; COMPUTE_PGM_RSRC2:TGID_X_EN: 1
; COMPUTE_PGM_RSRC2:TGID_Y_EN: 1
; COMPUTE_PGM_RSRC2:TGID_Z_EN: 1
; COMPUTE_PGM_RSRC2:TIDIG_COMP_CNT: 0
	.section	.text._ZL10k_get_rowsILi32ELi2EXadL_ZL15dequantize_q4_0PKvliR15HIP_vector_typeIfLj2EEEE14__hip_bfloat16EvS1_PKiPT2_llS2_IjLj3EEmmmmmmmmm,"axG",@progbits,_ZL10k_get_rowsILi32ELi2EXadL_ZL15dequantize_q4_0PKvliR15HIP_vector_typeIfLj2EEEE14__hip_bfloat16EvS1_PKiPT2_llS2_IjLj3EEmmmmmmmmm,comdat
	.globl	_ZL10k_get_rowsILi32ELi2EXadL_ZL15dequantize_q4_0PKvliR15HIP_vector_typeIfLj2EEEE14__hip_bfloat16EvS1_PKiPT2_llS2_IjLj3EEmmmmmmmmm ; -- Begin function _ZL10k_get_rowsILi32ELi2EXadL_ZL15dequantize_q4_0PKvliR15HIP_vector_typeIfLj2EEEE14__hip_bfloat16EvS1_PKiPT2_llS2_IjLj3EEmmmmmmmmm
	.p2align	8
	.type	_ZL10k_get_rowsILi32ELi2EXadL_ZL15dequantize_q4_0PKvliR15HIP_vector_typeIfLj2EEEE14__hip_bfloat16EvS1_PKiPT2_llS2_IjLj3EEmmmmmmmmm,@function
_ZL10k_get_rowsILi32ELi2EXadL_ZL15dequantize_q4_0PKvliR15HIP_vector_typeIfLj2EEEE14__hip_bfloat16EvS1_PKiPT2_llS2_IjLj3EEmmmmmmmmm: ; @_ZL10k_get_rowsILi32ELi2EXadL_ZL15dequantize_q4_0PKvliR15HIP_vector_typeIfLj2EEEE14__hip_bfloat16EvS1_PKiPT2_llS2_IjLj3EEmmmmmmmmm
; %bb.0:
	s_load_dwordx4 s[28:31], s[4:5], 0x18
	s_load_dwordx2 s[10:11], s[4:5], 0x2c
	s_mov_b32 s9, 0
	v_mov_b32_e32 v1, s8
	v_mov_b32_e32 v2, s9
	s_waitcnt lgkmcnt(0)
	s_mul_i32 s0, s31, s11
	s_mul_hi_u32 s1, s30, s11
	s_add_i32 s3, s1, s0
	s_mul_i32 s2, s30, s11
	v_cmp_le_i64_e32 vcc, s[2:3], v[1:2]
	s_cbranch_vccnz .LBB35_6
; %bb.1:
	s_load_dwordx4 s[36:39], s[4:5], 0x0
	s_load_dwordx2 s[40:41], s[4:5], 0x10
	s_load_dwordx2 s[30:31], s[4:5], 0x78
	s_load_dwordx2 s[34:35], s[4:5], 0x88
	s_load_dword s33, s[4:5], 0x28
	s_load_dwordx16 s[12:27], s[4:5], 0x38
	s_add_u32 s4, s4, 0x80
	s_addc_u32 s5, s5, 0
	s_waitcnt lgkmcnt(0)
	s_and_b32 s35, s35, 0xffff
	s_mul_i32 s7, s7, s35
	v_add_lshl_u32 v0, s7, v0, 1
	s_ashr_i32 s7, s6, 31
	s_mul_hi_u32 s42, s24, s6
	s_mul_i32 s43, s24, s7
	s_add_i32 s42, s42, s43
	s_mul_i32 s25, s25, s6
	s_add_i32 s25, s42, s25
	s_mul_i32 s24, s24, s6
	s_lshl_b64 s[24:25], s[24:25], 2
	s_add_u32 s42, s38, s24
	s_mul_hi_u32 s24, s12, s6
	s_mul_i32 s7, s12, s7
	s_addc_u32 s43, s39, s25
	s_add_i32 s7, s24, s7
	s_mul_i32 s13, s13, s6
	s_add_i32 s7, s7, s13
	s_mul_i32 s6, s12, s6
	v_mov_b32_e32 v1, 0
	s_lshl_b64 s[6:7], s[6:7], 1
	v_cmp_gt_i64_e64 s[0:1], s[28:29], v[0:1]
	s_add_u32 s44, s40, s6
	v_lshlrev_b64 v[2:3], 27, v[0:1]
	v_mov_b32_e32 v5, s3
	s_addc_u32 s45, s41, s7
	s_movk_i32 s46, 0x7fff
	s_movk_i32 s47, 0xffe0
	v_mov_b32_e32 v4, s2
	s_mov_b64 s[6:7], s[8:9]
	s_branch .LBB35_3
.LBB35_2:                               ;   in Loop: Header=BB35_3 Depth=1
	s_or_b64 exec, exec, s[12:13]
	s_add_u32 s6, s6, s34
	s_addc_u32 s7, s7, 0
	v_cmp_ge_i64_e32 vcc, s[6:7], v[4:5]
	s_cbranch_vccnz .LBB35_6
.LBB35_3:                               ; =>This Loop Header: Depth=1
                                        ;     Child Loop BB35_5 Depth 2
	s_and_saveexec_b64 s[12:13], s[0:1]
	s_cbranch_execz .LBB35_2
; %bb.4:                                ;   in Loop: Header=BB35_3 Depth=1
	s_mul_hi_u32 s2, s6, s33
	s_add_i32 s2, s2, s6
	s_lshr_b32 s8, s2, s10
	s_mul_i32 s2, s8, s11
	s_sub_i32 s38, s6, s2
	s_ashr_i32 s39, s8, 31
	s_mul_i32 s2, s26, s39
	s_mul_hi_u32 s3, s26, s8
	s_ashr_i32 s40, s38, 31
	s_add_i32 s2, s3, s2
	s_mul_i32 s3, s27, s8
	s_mul_i32 s24, s30, s40
	s_mul_hi_u32 s25, s30, s38
	s_add_i32 s3, s2, s3
	s_mul_i32 s2, s26, s8
	s_add_i32 s24, s25, s24
	s_mul_i32 s25, s31, s38
	s_add_i32 s25, s24, s25
	s_lshl_b64 s[2:3], s[2:3], 2
	s_mul_i32 s24, s30, s38
	s_add_u32 s41, s42, s2
	s_addc_u32 s48, s43, s3
	s_lshl_b64 s[2:3], s[24:25], 2
	s_add_u32 s2, s41, s2
	s_addc_u32 s3, s48, s3
	s_load_dword s24, s[2:3], 0x0
	s_mul_i32 s2, s14, s39
	s_mul_hi_u32 s3, s14, s8
	s_add_i32 s2, s3, s2
	s_mul_i32 s3, s15, s8
	s_add_i32 s3, s2, s3
	s_mul_i32 s2, s14, s8
	s_waitcnt lgkmcnt(0)
	s_ashr_i32 s25, s24, 31
	s_lshl_b64 s[2:3], s[2:3], 1
	s_add_u32 s41, s44, s2
	s_addc_u32 s49, s45, s3
	s_mul_i32 s2, s16, s40
	s_mul_hi_u32 s3, s16, s38
	s_add_i32 s2, s3, s2
	s_mul_i32 s3, s17, s38
	s_add_i32 s3, s2, s3
	s_mul_i32 s2, s16, s38
	s_lshl_b64 s[2:3], s[2:3], 1
	s_add_u32 s48, s41, s2
	s_addc_u32 s2, s49, s3
	s_mul_i32 s3, s18, s25
	s_mul_hi_u32 s25, s18, s24
	s_add_i32 s3, s25, s3
	s_mul_i32 s25, s19, s24
	s_add_i32 s3, s3, s25
	s_mul_i32 s24, s18, s24
	s_add_u32 s24, s36, s24
	s_mul_i32 s25, s20, s39
	s_mul_hi_u32 s39, s20, s8
	s_addc_u32 s3, s37, s3
	s_add_i32 s25, s39, s25
	s_mul_i32 s39, s21, s8
	s_add_i32 s25, s25, s39
	s_mul_i32 s8, s20, s8
	s_load_dword s39, s[4:5], 0x4
	s_add_u32 s8, s24, s8
	s_addc_u32 s3, s3, s25
	s_mul_i32 s24, s22, s40
	s_mul_hi_u32 s25, s22, s38
	s_add_i32 s24, s25, s24
	s_mul_i32 s25, s23, s38
	s_add_i32 s25, s24, s25
	s_mul_i32 s24, s22, s38
	s_add_u32 s24, s8, s24
	s_waitcnt lgkmcnt(0)
	s_mul_i32 s8, s39, s35
	s_addc_u32 s25, s3, s25
	s_lshl_b64 s[38:39], s[8:9], 27
	v_mov_b32_e32 v7, v3
	v_mov_b32_e32 v9, v1
	s_mov_b64 s[40:41], 0
	v_mov_b32_e32 v10, s2
	v_mov_b32_e32 v11, s39
	;; [unrolled: 1-line block ×4, first 2 shown]
.LBB35_5:                               ;   Parent Loop BB35_3 Depth=1
                                        ; =>  This Inner Loop Header: Depth=2
	v_mad_i64_i32 v[12:13], s[2:3], v7, 18, s[24:25]
	v_bfe_u32 v16, v8, 1, 4
	v_add_co_u32_e32 v14, vcc, v12, v16
	v_addc_co_u32_e32 v15, vcc, 0, v13, vcc
	global_load_ushort v17, v[12:13], off
	global_load_ubyte v18, v[14:15], off offset:2
	v_add_co_u32_e32 v6, vcc, s38, v6
	v_and_or_b32 v12, v8, s47, v16
	v_addc_co_u32_e32 v7, vcc, v7, v11, vcc
	v_add_co_u32_e32 v8, vcc, s8, v8
	v_addc_co_u32_e32 v9, vcc, 0, v9, vcc
	v_ashrrev_i32_e32 v13, 31, v12
	v_cmp_le_i64_e32 vcc, s[28:29], v[8:9]
	v_lshlrev_b64 v[12:13], 1, v[12:13]
	s_or_b64 s[40:41], vcc, s[40:41]
	v_add_co_u32_e32 v12, vcc, s48, v12
	v_addc_co_u32_e32 v13, vcc, v10, v13, vcc
	s_waitcnt vmcnt(1)
	v_cvt_f32_f16_e32 v14, v17
	s_waitcnt vmcnt(0)
	v_and_b32_e32 v15, 15, v18
	v_lshrrev_b32_e32 v16, 4, v18
	v_add_u32_e32 v15, -8, v15
	v_add_u32_e32 v16, -8, v16
	v_cvt_f32_i32_e32 v15, v15
	v_cvt_f32_i32_e32 v16, v16
	v_mul_f32_e32 v15, v14, v15
	v_mul_f32_e32 v14, v14, v16
	v_bfe_u32 v16, v15, 16, 1
	v_or_b32_e32 v17, 0x400000, v15
	v_bfe_u32 v18, v14, 16, 1
	v_add3_u32 v16, v16, v15, s46
	v_cmp_u_f32_e64 s[2:3], v15, v15
	v_or_b32_e32 v19, 0x400000, v14
	v_add3_u32 v18, v18, v14, s46
	v_cmp_u_f32_e32 vcc, v14, v14
	v_cndmask_b32_e64 v14, v16, v17, s[2:3]
	v_cndmask_b32_e32 v15, v18, v19, vcc
	global_store_short_d16_hi v[12:13], v14, off
	global_store_short_d16_hi v[12:13], v15, off offset:32
	s_andn2_b64 exec, exec, s[40:41]
	s_cbranch_execnz .LBB35_5
	s_branch .LBB35_2
.LBB35_6:
	s_endpgm
	.section	.rodata,"a",@progbits
	.p2align	6, 0x0
	.amdhsa_kernel _ZL10k_get_rowsILi32ELi2EXadL_ZL15dequantize_q4_0PKvliR15HIP_vector_typeIfLj2EEEE14__hip_bfloat16EvS1_PKiPT2_llS2_IjLj3EEmmmmmmmmm
		.amdhsa_group_segment_fixed_size 0
		.amdhsa_private_segment_fixed_size 0
		.amdhsa_kernarg_size 384
		.amdhsa_user_sgpr_count 6
		.amdhsa_user_sgpr_private_segment_buffer 1
		.amdhsa_user_sgpr_dispatch_ptr 0
		.amdhsa_user_sgpr_queue_ptr 0
		.amdhsa_user_sgpr_kernarg_segment_ptr 1
		.amdhsa_user_sgpr_dispatch_id 0
		.amdhsa_user_sgpr_flat_scratch_init 0
		.amdhsa_user_sgpr_private_segment_size 0
		.amdhsa_uses_dynamic_stack 0
		.amdhsa_system_sgpr_private_segment_wavefront_offset 0
		.amdhsa_system_sgpr_workgroup_id_x 1
		.amdhsa_system_sgpr_workgroup_id_y 1
		.amdhsa_system_sgpr_workgroup_id_z 1
		.amdhsa_system_sgpr_workgroup_info 0
		.amdhsa_system_vgpr_workitem_id 0
		.amdhsa_next_free_vgpr 20
		.amdhsa_next_free_sgpr 50
		.amdhsa_reserve_vcc 1
		.amdhsa_reserve_flat_scratch 0
		.amdhsa_float_round_mode_32 0
		.amdhsa_float_round_mode_16_64 0
		.amdhsa_float_denorm_mode_32 3
		.amdhsa_float_denorm_mode_16_64 3
		.amdhsa_dx10_clamp 1
		.amdhsa_ieee_mode 1
		.amdhsa_fp16_overflow 0
		.amdhsa_exception_fp_ieee_invalid_op 0
		.amdhsa_exception_fp_denorm_src 0
		.amdhsa_exception_fp_ieee_div_zero 0
		.amdhsa_exception_fp_ieee_overflow 0
		.amdhsa_exception_fp_ieee_underflow 0
		.amdhsa_exception_fp_ieee_inexact 0
		.amdhsa_exception_int_div_zero 0
	.end_amdhsa_kernel
	.section	.text._ZL10k_get_rowsILi32ELi2EXadL_ZL15dequantize_q4_0PKvliR15HIP_vector_typeIfLj2EEEE14__hip_bfloat16EvS1_PKiPT2_llS2_IjLj3EEmmmmmmmmm,"axG",@progbits,_ZL10k_get_rowsILi32ELi2EXadL_ZL15dequantize_q4_0PKvliR15HIP_vector_typeIfLj2EEEE14__hip_bfloat16EvS1_PKiPT2_llS2_IjLj3EEmmmmmmmmm,comdat
.Lfunc_end35:
	.size	_ZL10k_get_rowsILi32ELi2EXadL_ZL15dequantize_q4_0PKvliR15HIP_vector_typeIfLj2EEEE14__hip_bfloat16EvS1_PKiPT2_llS2_IjLj3EEmmmmmmmmm, .Lfunc_end35-_ZL10k_get_rowsILi32ELi2EXadL_ZL15dequantize_q4_0PKvliR15HIP_vector_typeIfLj2EEEE14__hip_bfloat16EvS1_PKiPT2_llS2_IjLj3EEmmmmmmmmm
                                        ; -- End function
	.set _ZL10k_get_rowsILi32ELi2EXadL_ZL15dequantize_q4_0PKvliR15HIP_vector_typeIfLj2EEEE14__hip_bfloat16EvS1_PKiPT2_llS2_IjLj3EEmmmmmmmmm.num_vgpr, 20
	.set _ZL10k_get_rowsILi32ELi2EXadL_ZL15dequantize_q4_0PKvliR15HIP_vector_typeIfLj2EEEE14__hip_bfloat16EvS1_PKiPT2_llS2_IjLj3EEmmmmmmmmm.num_agpr, 0
	.set _ZL10k_get_rowsILi32ELi2EXadL_ZL15dequantize_q4_0PKvliR15HIP_vector_typeIfLj2EEEE14__hip_bfloat16EvS1_PKiPT2_llS2_IjLj3EEmmmmmmmmm.numbered_sgpr, 50
	.set _ZL10k_get_rowsILi32ELi2EXadL_ZL15dequantize_q4_0PKvliR15HIP_vector_typeIfLj2EEEE14__hip_bfloat16EvS1_PKiPT2_llS2_IjLj3EEmmmmmmmmm.num_named_barrier, 0
	.set _ZL10k_get_rowsILi32ELi2EXadL_ZL15dequantize_q4_0PKvliR15HIP_vector_typeIfLj2EEEE14__hip_bfloat16EvS1_PKiPT2_llS2_IjLj3EEmmmmmmmmm.private_seg_size, 0
	.set _ZL10k_get_rowsILi32ELi2EXadL_ZL15dequantize_q4_0PKvliR15HIP_vector_typeIfLj2EEEE14__hip_bfloat16EvS1_PKiPT2_llS2_IjLj3EEmmmmmmmmm.uses_vcc, 1
	.set _ZL10k_get_rowsILi32ELi2EXadL_ZL15dequantize_q4_0PKvliR15HIP_vector_typeIfLj2EEEE14__hip_bfloat16EvS1_PKiPT2_llS2_IjLj3EEmmmmmmmmm.uses_flat_scratch, 0
	.set _ZL10k_get_rowsILi32ELi2EXadL_ZL15dequantize_q4_0PKvliR15HIP_vector_typeIfLj2EEEE14__hip_bfloat16EvS1_PKiPT2_llS2_IjLj3EEmmmmmmmmm.has_dyn_sized_stack, 0
	.set _ZL10k_get_rowsILi32ELi2EXadL_ZL15dequantize_q4_0PKvliR15HIP_vector_typeIfLj2EEEE14__hip_bfloat16EvS1_PKiPT2_llS2_IjLj3EEmmmmmmmmm.has_recursion, 0
	.set _ZL10k_get_rowsILi32ELi2EXadL_ZL15dequantize_q4_0PKvliR15HIP_vector_typeIfLj2EEEE14__hip_bfloat16EvS1_PKiPT2_llS2_IjLj3EEmmmmmmmmm.has_indirect_call, 0
	.section	.AMDGPU.csdata,"",@progbits
; Kernel info:
; codeLenInByte = 860
; TotalNumSgprs: 54
; NumVgprs: 20
; ScratchSize: 0
; MemoryBound: 0
; FloatMode: 240
; IeeeMode: 1
; LDSByteSize: 0 bytes/workgroup (compile time only)
; SGPRBlocks: 6
; VGPRBlocks: 4
; NumSGPRsForWavesPerEU: 54
; NumVGPRsForWavesPerEU: 20
; Occupancy: 10
; WaveLimiterHint : 1
; COMPUTE_PGM_RSRC2:SCRATCH_EN: 0
; COMPUTE_PGM_RSRC2:USER_SGPR: 6
; COMPUTE_PGM_RSRC2:TRAP_HANDLER: 0
; COMPUTE_PGM_RSRC2:TGID_X_EN: 1
; COMPUTE_PGM_RSRC2:TGID_Y_EN: 1
; COMPUTE_PGM_RSRC2:TGID_Z_EN: 1
; COMPUTE_PGM_RSRC2:TIDIG_COMP_CNT: 0
	.section	.text._ZL10k_get_rowsILi32ELi2EXadL_ZL15dequantize_q4_1PKvliR15HIP_vector_typeIfLj2EEEE14__hip_bfloat16EvS1_PKiPT2_llS2_IjLj3EEmmmmmmmmm,"axG",@progbits,_ZL10k_get_rowsILi32ELi2EXadL_ZL15dequantize_q4_1PKvliR15HIP_vector_typeIfLj2EEEE14__hip_bfloat16EvS1_PKiPT2_llS2_IjLj3EEmmmmmmmmm,comdat
	.globl	_ZL10k_get_rowsILi32ELi2EXadL_ZL15dequantize_q4_1PKvliR15HIP_vector_typeIfLj2EEEE14__hip_bfloat16EvS1_PKiPT2_llS2_IjLj3EEmmmmmmmmm ; -- Begin function _ZL10k_get_rowsILi32ELi2EXadL_ZL15dequantize_q4_1PKvliR15HIP_vector_typeIfLj2EEEE14__hip_bfloat16EvS1_PKiPT2_llS2_IjLj3EEmmmmmmmmm
	.p2align	8
	.type	_ZL10k_get_rowsILi32ELi2EXadL_ZL15dequantize_q4_1PKvliR15HIP_vector_typeIfLj2EEEE14__hip_bfloat16EvS1_PKiPT2_llS2_IjLj3EEmmmmmmmmm,@function
_ZL10k_get_rowsILi32ELi2EXadL_ZL15dequantize_q4_1PKvliR15HIP_vector_typeIfLj2EEEE14__hip_bfloat16EvS1_PKiPT2_llS2_IjLj3EEmmmmmmmmm: ; @_ZL10k_get_rowsILi32ELi2EXadL_ZL15dequantize_q4_1PKvliR15HIP_vector_typeIfLj2EEEE14__hip_bfloat16EvS1_PKiPT2_llS2_IjLj3EEmmmmmmmmm
; %bb.0:
	s_load_dwordx4 s[28:31], s[4:5], 0x18
	s_load_dwordx2 s[10:11], s[4:5], 0x2c
	s_mov_b32 s9, 0
	v_mov_b32_e32 v1, s8
	v_mov_b32_e32 v2, s9
	s_waitcnt lgkmcnt(0)
	s_mul_i32 s0, s31, s11
	s_mul_hi_u32 s1, s30, s11
	s_add_i32 s3, s1, s0
	s_mul_i32 s2, s30, s11
	v_cmp_le_i64_e32 vcc, s[2:3], v[1:2]
	s_cbranch_vccnz .LBB36_6
; %bb.1:
	s_load_dwordx4 s[36:39], s[4:5], 0x0
	s_load_dwordx2 s[40:41], s[4:5], 0x10
	s_load_dwordx2 s[30:31], s[4:5], 0x78
	;; [unrolled: 1-line block ×3, first 2 shown]
	s_load_dword s33, s[4:5], 0x28
	s_load_dwordx16 s[12:27], s[4:5], 0x38
	s_add_u32 s4, s4, 0x80
	s_addc_u32 s5, s5, 0
	s_waitcnt lgkmcnt(0)
	s_and_b32 s35, s35, 0xffff
	s_mul_i32 s7, s7, s35
	v_add_lshl_u32 v0, s7, v0, 1
	s_ashr_i32 s7, s6, 31
	s_mul_hi_u32 s42, s24, s6
	s_mul_i32 s43, s24, s7
	s_add_i32 s42, s42, s43
	s_mul_i32 s25, s25, s6
	s_add_i32 s25, s42, s25
	s_mul_i32 s24, s24, s6
	s_lshl_b64 s[24:25], s[24:25], 2
	s_add_u32 s42, s38, s24
	s_mul_hi_u32 s24, s12, s6
	s_mul_i32 s7, s12, s7
	s_addc_u32 s43, s39, s25
	s_add_i32 s7, s24, s7
	s_mul_i32 s13, s13, s6
	s_add_i32 s7, s7, s13
	s_mul_i32 s6, s12, s6
	v_mov_b32_e32 v1, 0
	s_lshl_b64 s[6:7], s[6:7], 1
	v_cmp_gt_i64_e64 s[0:1], s[28:29], v[0:1]
	s_add_u32 s44, s40, s6
	v_lshlrev_b64 v[2:3], 27, v[0:1]
	v_mov_b32_e32 v5, s3
	s_addc_u32 s45, s41, s7
	s_movk_i32 s46, 0x7fff
	s_movk_i32 s47, 0xffe0
	v_mov_b32_e32 v4, s2
	s_mov_b64 s[6:7], s[8:9]
	s_branch .LBB36_3
.LBB36_2:                               ;   in Loop: Header=BB36_3 Depth=1
	s_or_b64 exec, exec, s[12:13]
	s_add_u32 s6, s6, s34
	s_addc_u32 s7, s7, 0
	v_cmp_ge_i64_e32 vcc, s[6:7], v[4:5]
	s_cbranch_vccnz .LBB36_6
.LBB36_3:                               ; =>This Loop Header: Depth=1
                                        ;     Child Loop BB36_5 Depth 2
	s_and_saveexec_b64 s[12:13], s[0:1]
	s_cbranch_execz .LBB36_2
; %bb.4:                                ;   in Loop: Header=BB36_3 Depth=1
	s_mul_hi_u32 s2, s6, s33
	s_add_i32 s2, s2, s6
	s_lshr_b32 s8, s2, s10
	s_mul_i32 s2, s8, s11
	s_sub_i32 s38, s6, s2
	s_ashr_i32 s39, s8, 31
	s_mul_i32 s2, s26, s39
	s_mul_hi_u32 s3, s26, s8
	s_ashr_i32 s40, s38, 31
	s_add_i32 s2, s3, s2
	s_mul_i32 s3, s27, s8
	s_mul_i32 s24, s30, s40
	s_mul_hi_u32 s25, s30, s38
	s_add_i32 s3, s2, s3
	s_mul_i32 s2, s26, s8
	s_add_i32 s24, s25, s24
	s_mul_i32 s25, s31, s38
	s_add_i32 s25, s24, s25
	s_lshl_b64 s[2:3], s[2:3], 2
	s_mul_i32 s24, s30, s38
	s_add_u32 s41, s42, s2
	s_addc_u32 s48, s43, s3
	s_lshl_b64 s[2:3], s[24:25], 2
	s_add_u32 s2, s41, s2
	s_addc_u32 s3, s48, s3
	s_load_dword s24, s[2:3], 0x0
	s_mul_i32 s2, s14, s39
	s_mul_hi_u32 s3, s14, s8
	s_add_i32 s2, s3, s2
	s_mul_i32 s3, s15, s8
	s_add_i32 s3, s2, s3
	s_mul_i32 s2, s14, s8
	s_waitcnt lgkmcnt(0)
	s_ashr_i32 s25, s24, 31
	s_lshl_b64 s[2:3], s[2:3], 1
	s_add_u32 s41, s44, s2
	s_addc_u32 s49, s45, s3
	s_mul_i32 s2, s16, s40
	s_mul_hi_u32 s3, s16, s38
	s_add_i32 s2, s3, s2
	s_mul_i32 s3, s17, s38
	s_add_i32 s3, s2, s3
	s_mul_i32 s2, s16, s38
	s_lshl_b64 s[2:3], s[2:3], 1
	s_add_u32 s48, s41, s2
	s_addc_u32 s2, s49, s3
	s_mul_i32 s3, s18, s25
	s_mul_hi_u32 s25, s18, s24
	s_add_i32 s3, s25, s3
	s_mul_i32 s25, s19, s24
	s_add_i32 s3, s3, s25
	s_mul_i32 s24, s18, s24
	s_add_u32 s24, s36, s24
	s_mul_i32 s25, s20, s39
	s_mul_hi_u32 s39, s20, s8
	s_addc_u32 s3, s37, s3
	s_add_i32 s25, s39, s25
	s_mul_i32 s39, s21, s8
	s_add_i32 s25, s25, s39
	s_mul_i32 s8, s20, s8
	s_load_dword s39, s[4:5], 0x4
	s_add_u32 s8, s24, s8
	s_addc_u32 s3, s3, s25
	s_mul_i32 s24, s22, s40
	s_mul_hi_u32 s25, s22, s38
	s_add_i32 s24, s25, s24
	s_mul_i32 s25, s23, s38
	s_add_i32 s25, s24, s25
	s_mul_i32 s24, s22, s38
	s_add_u32 s24, s8, s24
	s_waitcnt lgkmcnt(0)
	s_mul_i32 s8, s39, s35
	s_addc_u32 s25, s3, s25
	s_lshl_b64 s[38:39], s[8:9], 27
	v_mov_b32_e32 v7, v3
	v_mov_b32_e32 v9, v1
	s_mov_b64 s[40:41], 0
	v_mov_b32_e32 v10, s2
	v_mov_b32_e32 v11, s39
	;; [unrolled: 1-line block ×4, first 2 shown]
.LBB36_5:                               ;   Parent Loop BB36_3 Depth=1
                                        ; =>  This Inner Loop Header: Depth=2
	v_mad_i64_i32 v[12:13], s[2:3], v7, 20, s[24:25]
	v_bfe_u32 v16, v8, 1, 4
	v_add_co_u32_e32 v14, vcc, v12, v16
	v_addc_co_u32_e32 v15, vcc, 0, v13, vcc
	global_load_dword v17, v[12:13], off
	global_load_ubyte v18, v[14:15], off offset:4
	v_add_co_u32_e32 v6, vcc, s38, v6
	v_addc_co_u32_e32 v7, vcc, v7, v11, vcc
	v_and_or_b32 v12, v8, s47, v16
	v_add_co_u32_e32 v8, vcc, s8, v8
	v_addc_co_u32_e32 v9, vcc, 0, v9, vcc
	v_ashrrev_i32_e32 v13, 31, v12
	v_cmp_le_i64_e32 vcc, s[28:29], v[8:9]
	v_lshlrev_b64 v[12:13], 1, v[12:13]
	s_or_b64 s[40:41], vcc, s[40:41]
	v_add_co_u32_e32 v12, vcc, s48, v12
	v_addc_co_u32_e32 v13, vcc, v10, v13, vcc
	s_waitcnt vmcnt(0)
	v_and_b32_e32 v14, 15, v18
	v_lshrrev_b32_e32 v15, 4, v18
	v_cvt_f32_ubyte0_e32 v14, v14
	v_cvt_f32_ubyte0_e32 v15, v15
	v_fma_mix_f32 v14, v17, v14, v17 op_sel:[0,0,1] op_sel_hi:[1,0,1]
	v_fma_mix_f32 v15, v17, v15, v17 op_sel:[0,0,1] op_sel_hi:[1,0,1]
	v_bfe_u32 v16, v14, 16, 1
	v_or_b32_e32 v17, 0x400000, v14
	v_bfe_u32 v18, v15, 16, 1
	v_add3_u32 v16, v16, v14, s46
	v_cmp_u_f32_e64 s[2:3], v14, v14
	v_or_b32_e32 v19, 0x400000, v15
	v_add3_u32 v18, v18, v15, s46
	v_cmp_u_f32_e32 vcc, v15, v15
	v_cndmask_b32_e64 v14, v16, v17, s[2:3]
	v_cndmask_b32_e32 v15, v18, v19, vcc
	global_store_short_d16_hi v[12:13], v14, off
	global_store_short_d16_hi v[12:13], v15, off offset:32
	s_andn2_b64 exec, exec, s[40:41]
	s_cbranch_execnz .LBB36_5
	s_branch .LBB36_2
.LBB36_6:
	s_endpgm
	.section	.rodata,"a",@progbits
	.p2align	6, 0x0
	.amdhsa_kernel _ZL10k_get_rowsILi32ELi2EXadL_ZL15dequantize_q4_1PKvliR15HIP_vector_typeIfLj2EEEE14__hip_bfloat16EvS1_PKiPT2_llS2_IjLj3EEmmmmmmmmm
		.amdhsa_group_segment_fixed_size 0
		.amdhsa_private_segment_fixed_size 0
		.amdhsa_kernarg_size 384
		.amdhsa_user_sgpr_count 6
		.amdhsa_user_sgpr_private_segment_buffer 1
		.amdhsa_user_sgpr_dispatch_ptr 0
		.amdhsa_user_sgpr_queue_ptr 0
		.amdhsa_user_sgpr_kernarg_segment_ptr 1
		.amdhsa_user_sgpr_dispatch_id 0
		.amdhsa_user_sgpr_flat_scratch_init 0
		.amdhsa_user_sgpr_private_segment_size 0
		.amdhsa_uses_dynamic_stack 0
		.amdhsa_system_sgpr_private_segment_wavefront_offset 0
		.amdhsa_system_sgpr_workgroup_id_x 1
		.amdhsa_system_sgpr_workgroup_id_y 1
		.amdhsa_system_sgpr_workgroup_id_z 1
		.amdhsa_system_sgpr_workgroup_info 0
		.amdhsa_system_vgpr_workitem_id 0
		.amdhsa_next_free_vgpr 20
		.amdhsa_next_free_sgpr 50
		.amdhsa_reserve_vcc 1
		.amdhsa_reserve_flat_scratch 0
		.amdhsa_float_round_mode_32 0
		.amdhsa_float_round_mode_16_64 0
		.amdhsa_float_denorm_mode_32 3
		.amdhsa_float_denorm_mode_16_64 3
		.amdhsa_dx10_clamp 1
		.amdhsa_ieee_mode 1
		.amdhsa_fp16_overflow 0
		.amdhsa_exception_fp_ieee_invalid_op 0
		.amdhsa_exception_fp_denorm_src 0
		.amdhsa_exception_fp_ieee_div_zero 0
		.amdhsa_exception_fp_ieee_overflow 0
		.amdhsa_exception_fp_ieee_underflow 0
		.amdhsa_exception_fp_ieee_inexact 0
		.amdhsa_exception_int_div_zero 0
	.end_amdhsa_kernel
	.section	.text._ZL10k_get_rowsILi32ELi2EXadL_ZL15dequantize_q4_1PKvliR15HIP_vector_typeIfLj2EEEE14__hip_bfloat16EvS1_PKiPT2_llS2_IjLj3EEmmmmmmmmm,"axG",@progbits,_ZL10k_get_rowsILi32ELi2EXadL_ZL15dequantize_q4_1PKvliR15HIP_vector_typeIfLj2EEEE14__hip_bfloat16EvS1_PKiPT2_llS2_IjLj3EEmmmmmmmmm,comdat
.Lfunc_end36:
	.size	_ZL10k_get_rowsILi32ELi2EXadL_ZL15dequantize_q4_1PKvliR15HIP_vector_typeIfLj2EEEE14__hip_bfloat16EvS1_PKiPT2_llS2_IjLj3EEmmmmmmmmm, .Lfunc_end36-_ZL10k_get_rowsILi32ELi2EXadL_ZL15dequantize_q4_1PKvliR15HIP_vector_typeIfLj2EEEE14__hip_bfloat16EvS1_PKiPT2_llS2_IjLj3EEmmmmmmmmm
                                        ; -- End function
	.set _ZL10k_get_rowsILi32ELi2EXadL_ZL15dequantize_q4_1PKvliR15HIP_vector_typeIfLj2EEEE14__hip_bfloat16EvS1_PKiPT2_llS2_IjLj3EEmmmmmmmmm.num_vgpr, 20
	.set _ZL10k_get_rowsILi32ELi2EXadL_ZL15dequantize_q4_1PKvliR15HIP_vector_typeIfLj2EEEE14__hip_bfloat16EvS1_PKiPT2_llS2_IjLj3EEmmmmmmmmm.num_agpr, 0
	.set _ZL10k_get_rowsILi32ELi2EXadL_ZL15dequantize_q4_1PKvliR15HIP_vector_typeIfLj2EEEE14__hip_bfloat16EvS1_PKiPT2_llS2_IjLj3EEmmmmmmmmm.numbered_sgpr, 50
	.set _ZL10k_get_rowsILi32ELi2EXadL_ZL15dequantize_q4_1PKvliR15HIP_vector_typeIfLj2EEEE14__hip_bfloat16EvS1_PKiPT2_llS2_IjLj3EEmmmmmmmmm.num_named_barrier, 0
	.set _ZL10k_get_rowsILi32ELi2EXadL_ZL15dequantize_q4_1PKvliR15HIP_vector_typeIfLj2EEEE14__hip_bfloat16EvS1_PKiPT2_llS2_IjLj3EEmmmmmmmmm.private_seg_size, 0
	.set _ZL10k_get_rowsILi32ELi2EXadL_ZL15dequantize_q4_1PKvliR15HIP_vector_typeIfLj2EEEE14__hip_bfloat16EvS1_PKiPT2_llS2_IjLj3EEmmmmmmmmm.uses_vcc, 1
	.set _ZL10k_get_rowsILi32ELi2EXadL_ZL15dequantize_q4_1PKvliR15HIP_vector_typeIfLj2EEEE14__hip_bfloat16EvS1_PKiPT2_llS2_IjLj3EEmmmmmmmmm.uses_flat_scratch, 0
	.set _ZL10k_get_rowsILi32ELi2EXadL_ZL15dequantize_q4_1PKvliR15HIP_vector_typeIfLj2EEEE14__hip_bfloat16EvS1_PKiPT2_llS2_IjLj3EEmmmmmmmmm.has_dyn_sized_stack, 0
	.set _ZL10k_get_rowsILi32ELi2EXadL_ZL15dequantize_q4_1PKvliR15HIP_vector_typeIfLj2EEEE14__hip_bfloat16EvS1_PKiPT2_llS2_IjLj3EEmmmmmmmmm.has_recursion, 0
	.set _ZL10k_get_rowsILi32ELi2EXadL_ZL15dequantize_q4_1PKvliR15HIP_vector_typeIfLj2EEEE14__hip_bfloat16EvS1_PKiPT2_llS2_IjLj3EEmmmmmmmmm.has_indirect_call, 0
	.section	.AMDGPU.csdata,"",@progbits
; Kernel info:
; codeLenInByte = 852
; TotalNumSgprs: 54
; NumVgprs: 20
; ScratchSize: 0
; MemoryBound: 0
; FloatMode: 240
; IeeeMode: 1
; LDSByteSize: 0 bytes/workgroup (compile time only)
; SGPRBlocks: 6
; VGPRBlocks: 4
; NumSGPRsForWavesPerEU: 54
; NumVGPRsForWavesPerEU: 20
; Occupancy: 10
; WaveLimiterHint : 1
; COMPUTE_PGM_RSRC2:SCRATCH_EN: 0
; COMPUTE_PGM_RSRC2:USER_SGPR: 6
; COMPUTE_PGM_RSRC2:TRAP_HANDLER: 0
; COMPUTE_PGM_RSRC2:TGID_X_EN: 1
; COMPUTE_PGM_RSRC2:TGID_Y_EN: 1
; COMPUTE_PGM_RSRC2:TGID_Z_EN: 1
; COMPUTE_PGM_RSRC2:TIDIG_COMP_CNT: 0
	.section	.text._ZL10k_get_rowsILi32ELi2EXadL_ZL15dequantize_q5_0PKvliR15HIP_vector_typeIfLj2EEEE14__hip_bfloat16EvS1_PKiPT2_llS2_IjLj3EEmmmmmmmmm,"axG",@progbits,_ZL10k_get_rowsILi32ELi2EXadL_ZL15dequantize_q5_0PKvliR15HIP_vector_typeIfLj2EEEE14__hip_bfloat16EvS1_PKiPT2_llS2_IjLj3EEmmmmmmmmm,comdat
	.globl	_ZL10k_get_rowsILi32ELi2EXadL_ZL15dequantize_q5_0PKvliR15HIP_vector_typeIfLj2EEEE14__hip_bfloat16EvS1_PKiPT2_llS2_IjLj3EEmmmmmmmmm ; -- Begin function _ZL10k_get_rowsILi32ELi2EXadL_ZL15dequantize_q5_0PKvliR15HIP_vector_typeIfLj2EEEE14__hip_bfloat16EvS1_PKiPT2_llS2_IjLj3EEmmmmmmmmm
	.p2align	8
	.type	_ZL10k_get_rowsILi32ELi2EXadL_ZL15dequantize_q5_0PKvliR15HIP_vector_typeIfLj2EEEE14__hip_bfloat16EvS1_PKiPT2_llS2_IjLj3EEmmmmmmmmm,@function
_ZL10k_get_rowsILi32ELi2EXadL_ZL15dequantize_q5_0PKvliR15HIP_vector_typeIfLj2EEEE14__hip_bfloat16EvS1_PKiPT2_llS2_IjLj3EEmmmmmmmmm: ; @_ZL10k_get_rowsILi32ELi2EXadL_ZL15dequantize_q5_0PKvliR15HIP_vector_typeIfLj2EEEE14__hip_bfloat16EvS1_PKiPT2_llS2_IjLj3EEmmmmmmmmm
; %bb.0:
	s_load_dwordx4 s[28:31], s[4:5], 0x18
	s_load_dwordx2 s[2:3], s[4:5], 0x2c
	s_mov_b32 s9, 0
	v_mov_b32_e32 v1, s8
	v_mov_b32_e32 v2, s9
	s_waitcnt lgkmcnt(0)
	s_mul_i32 s0, s31, s3
	s_mul_hi_u32 s1, s30, s3
	s_add_i32 s11, s1, s0
	s_mul_i32 s10, s30, s3
	v_cmp_le_i64_e32 vcc, s[10:11], v[1:2]
	s_cbranch_vccnz .LBB37_6
; %bb.1:
	s_load_dwordx4 s[36:39], s[4:5], 0x0
	s_load_dwordx2 s[40:41], s[4:5], 0x10
	s_load_dwordx2 s[30:31], s[4:5], 0x78
	s_load_dwordx2 s[34:35], s[4:5], 0x88
	s_load_dword s33, s[4:5], 0x28
	s_load_dwordx16 s[12:27], s[4:5], 0x38
	s_add_u32 s4, s4, 0x80
	s_addc_u32 s5, s5, 0
	s_waitcnt lgkmcnt(0)
	s_and_b32 s35, s35, 0xffff
	s_mul_i32 s7, s7, s35
	v_add_lshl_u32 v0, s7, v0, 1
	s_ashr_i32 s7, s6, 31
	s_mul_hi_u32 s42, s24, s6
	s_mul_i32 s43, s24, s7
	s_add_i32 s42, s42, s43
	s_mul_i32 s25, s25, s6
	s_add_i32 s25, s42, s25
	s_mul_i32 s24, s24, s6
	s_lshl_b64 s[24:25], s[24:25], 2
	s_add_u32 s42, s38, s24
	s_mul_hi_u32 s24, s12, s6
	s_mul_i32 s7, s12, s7
	s_addc_u32 s43, s39, s25
	s_add_i32 s7, s24, s7
	s_mul_i32 s13, s13, s6
	s_add_i32 s7, s7, s13
	s_mul_i32 s6, s12, s6
	v_mov_b32_e32 v1, 0
	s_lshl_b64 s[6:7], s[6:7], 1
	v_cmp_gt_i64_e64 s[0:1], s[28:29], v[0:1]
	s_add_u32 s44, s40, s6
	v_lshlrev_b64 v[2:3], 27, v[0:1]
	s_addc_u32 s45, s41, s7
	s_mov_b32 s46, 0x1000706
	s_movk_i32 s47, 0x7fff
	s_movk_i32 s48, 0xffe0
	s_mov_b64 s[6:7], s[8:9]
	s_branch .LBB37_3
.LBB37_2:                               ;   in Loop: Header=BB37_3 Depth=1
	s_or_b64 exec, exec, s[12:13]
	s_add_u32 s6, s6, s34
	v_mov_b32_e32 v4, s10
	s_addc_u32 s7, s7, 0
	v_mov_b32_e32 v5, s11
	v_cmp_ge_i64_e32 vcc, s[6:7], v[4:5]
	s_cbranch_vccnz .LBB37_6
.LBB37_3:                               ; =>This Loop Header: Depth=1
                                        ;     Child Loop BB37_5 Depth 2
	s_and_saveexec_b64 s[12:13], s[0:1]
	s_cbranch_execz .LBB37_2
; %bb.4:                                ;   in Loop: Header=BB37_3 Depth=1
	s_mul_hi_u32 s8, s6, s33
	s_add_i32 s8, s8, s6
	s_lshr_b32 s8, s8, s2
	s_mul_i32 s24, s8, s3
	s_sub_i32 s40, s6, s24
	s_ashr_i32 s41, s8, 31
	s_mul_i32 s24, s26, s41
	s_mul_hi_u32 s25, s26, s8
	s_ashr_i32 s50, s40, 31
	s_add_i32 s24, s25, s24
	s_mul_i32 s25, s27, s8
	s_mul_i32 s38, s30, s50
	s_mul_hi_u32 s39, s30, s40
	s_add_i32 s25, s24, s25
	s_mul_i32 s24, s26, s8
	s_add_i32 s38, s39, s38
	s_mul_i32 s39, s31, s40
	s_add_i32 s39, s38, s39
	s_lshl_b64 s[24:25], s[24:25], 2
	s_mul_i32 s38, s30, s40
	s_add_u32 s49, s42, s24
	s_addc_u32 s51, s43, s25
	s_lshl_b64 s[24:25], s[38:39], 2
	s_add_u32 s24, s49, s24
	s_addc_u32 s25, s51, s25
	s_load_dword s38, s[24:25], 0x0
	s_mul_i32 s24, s14, s41
	s_mul_hi_u32 s25, s14, s8
	s_add_i32 s24, s25, s24
	s_mul_i32 s25, s15, s8
	s_add_i32 s25, s24, s25
	s_mul_i32 s24, s14, s8
	s_waitcnt lgkmcnt(0)
	s_ashr_i32 s39, s38, 31
	s_lshl_b64 s[24:25], s[24:25], 1
	s_add_u32 s49, s44, s24
	s_addc_u32 s51, s45, s25
	s_mul_i32 s24, s16, s50
	s_mul_hi_u32 s25, s16, s40
	s_add_i32 s24, s25, s24
	s_mul_i32 s25, s17, s40
	s_add_i32 s25, s24, s25
	s_mul_i32 s24, s16, s40
	s_lshl_b64 s[24:25], s[24:25], 1
	s_add_u32 s49, s49, s24
	s_addc_u32 s51, s51, s25
	s_mul_i32 s24, s18, s39
	s_mul_hi_u32 s25, s18, s38
	s_add_i32 s24, s25, s24
	s_mul_i32 s25, s19, s38
	s_add_i32 s24, s24, s25
	s_mul_i32 s25, s18, s38
	s_add_u32 s25, s36, s25
	s_mul_i32 s38, s20, s41
	s_mul_hi_u32 s39, s20, s8
	s_addc_u32 s24, s37, s24
	s_add_i32 s38, s39, s38
	s_mul_i32 s39, s21, s8
	s_add_i32 s38, s38, s39
	s_mul_i32 s8, s20, s8
	s_load_dword s39, s[4:5], 0x4
	s_add_u32 s8, s25, s8
	s_addc_u32 s25, s24, s38
	s_mul_i32 s24, s22, s50
	s_mul_hi_u32 s38, s22, s40
	s_add_i32 s24, s38, s24
	s_mul_i32 s38, s23, s40
	s_add_i32 s38, s24, s38
	s_mul_i32 s24, s22, s40
	s_add_u32 s24, s8, s24
	s_waitcnt lgkmcnt(0)
	s_mul_i32 s8, s39, s35
	s_addc_u32 s25, s25, s38
	s_lshl_b64 s[38:39], s[8:9], 27
	v_mov_b32_e32 v5, v3
	v_mov_b32_e32 v7, v1
	s_mov_b64 s[40:41], 0
	v_mov_b32_e32 v8, s51
	v_mov_b32_e32 v9, s39
	;; [unrolled: 1-line block ×4, first 2 shown]
.LBB37_5:                               ;   Parent Loop BB37_3 Depth=1
                                        ; =>  This Inner Loop Header: Depth=2
	v_mad_i64_i32 v[10:11], s[50:51], v5, 22, s[24:25]
	v_bfe_u32 v12, v6, 1, 4
	v_add_u32_e32 v16, 12, v12
	global_load_dword v13, v[10:11], off
	global_load_ushort v14, v[10:11], off offset:4
	v_add_co_u32_e32 v10, vcc, v10, v12
	v_addc_co_u32_e32 v11, vcc, 0, v11, vcc
	global_load_ubyte v15, v[10:11], off offset:6
	v_and_or_b32 v10, v6, s48, v12
	v_add_co_u32_e32 v4, vcc, s38, v4
	v_addc_co_u32_e32 v5, vcc, v5, v9, vcc
	v_add_co_u32_e32 v6, vcc, s8, v6
	v_addc_co_u32_e32 v7, vcc, 0, v7, vcc
	v_ashrrev_i32_e32 v11, 31, v10
	v_cmp_le_i64_e32 vcc, s[28:29], v[6:7]
	v_lshlrev_b64 v[10:11], 1, v[10:11]
	s_or_b64 s[40:41], vcc, s[40:41]
	v_add_co_u32_e32 v10, vcc, s49, v10
	v_addc_co_u32_e32 v11, vcc, v8, v11, vcc
	s_waitcnt vmcnt(2)
	v_cvt_f32_f16_e32 v17, v13
	s_waitcnt vmcnt(1)
	v_perm_b32 v13, v13, v14, s46
	v_lshrrev_b32_e32 v12, v12, v13
	v_lshrrev_b32_e32 v13, v16, v13
	v_lshlrev_b32_e32 v12, 4, v12
	v_and_b32_e32 v13, 16, v13
	s_waitcnt vmcnt(0)
	v_lshrrev_b16_e32 v14, 4, v15
	v_or_b32_e32 v14, -16, v14
	v_or_b32_e32 v15, -16, v15
	v_and_b32_e32 v12, 16, v12
	v_add_u32_sdwa v13, v13, sext(v14) dst_sel:DWORD dst_unused:UNUSED_PAD src0_sel:DWORD src1_sel:WORD_0
	v_add_u32_e32 v12, v15, v12
	v_cvt_f32_i32_e32 v13, v13
	v_cvt_f32_i32_e32 v12, v12
	v_mul_f32_e32 v13, v17, v13
	v_mul_f32_e32 v12, v17, v12
	v_bfe_u32 v14, v13, 16, 1
	v_or_b32_e32 v15, 0x400000, v13
	v_bfe_u32 v16, v12, 16, 1
	v_add3_u32 v14, v14, v13, s47
	v_cmp_u_f32_e32 vcc, v13, v13
	v_or_b32_e32 v17, 0x400000, v12
	v_add3_u32 v13, v16, v12, s47
	v_cndmask_b32_e32 v14, v14, v15, vcc
	v_cmp_u_f32_e32 vcc, v12, v12
	v_cndmask_b32_e32 v12, v13, v17, vcc
	global_store_short_d16_hi v[10:11], v14, off offset:32
	global_store_short_d16_hi v[10:11], v12, off
	s_andn2_b64 exec, exec, s[40:41]
	s_cbranch_execnz .LBB37_5
	s_branch .LBB37_2
.LBB37_6:
	s_endpgm
	.section	.rodata,"a",@progbits
	.p2align	6, 0x0
	.amdhsa_kernel _ZL10k_get_rowsILi32ELi2EXadL_ZL15dequantize_q5_0PKvliR15HIP_vector_typeIfLj2EEEE14__hip_bfloat16EvS1_PKiPT2_llS2_IjLj3EEmmmmmmmmm
		.amdhsa_group_segment_fixed_size 0
		.amdhsa_private_segment_fixed_size 0
		.amdhsa_kernarg_size 384
		.amdhsa_user_sgpr_count 6
		.amdhsa_user_sgpr_private_segment_buffer 1
		.amdhsa_user_sgpr_dispatch_ptr 0
		.amdhsa_user_sgpr_queue_ptr 0
		.amdhsa_user_sgpr_kernarg_segment_ptr 1
		.amdhsa_user_sgpr_dispatch_id 0
		.amdhsa_user_sgpr_flat_scratch_init 0
		.amdhsa_user_sgpr_private_segment_size 0
		.amdhsa_uses_dynamic_stack 0
		.amdhsa_system_sgpr_private_segment_wavefront_offset 0
		.amdhsa_system_sgpr_workgroup_id_x 1
		.amdhsa_system_sgpr_workgroup_id_y 1
		.amdhsa_system_sgpr_workgroup_id_z 1
		.amdhsa_system_sgpr_workgroup_info 0
		.amdhsa_system_vgpr_workitem_id 0
		.amdhsa_next_free_vgpr 18
		.amdhsa_next_free_sgpr 52
		.amdhsa_reserve_vcc 1
		.amdhsa_reserve_flat_scratch 0
		.amdhsa_float_round_mode_32 0
		.amdhsa_float_round_mode_16_64 0
		.amdhsa_float_denorm_mode_32 3
		.amdhsa_float_denorm_mode_16_64 3
		.amdhsa_dx10_clamp 1
		.amdhsa_ieee_mode 1
		.amdhsa_fp16_overflow 0
		.amdhsa_exception_fp_ieee_invalid_op 0
		.amdhsa_exception_fp_denorm_src 0
		.amdhsa_exception_fp_ieee_div_zero 0
		.amdhsa_exception_fp_ieee_overflow 0
		.amdhsa_exception_fp_ieee_underflow 0
		.amdhsa_exception_fp_ieee_inexact 0
		.amdhsa_exception_int_div_zero 0
	.end_amdhsa_kernel
	.section	.text._ZL10k_get_rowsILi32ELi2EXadL_ZL15dequantize_q5_0PKvliR15HIP_vector_typeIfLj2EEEE14__hip_bfloat16EvS1_PKiPT2_llS2_IjLj3EEmmmmmmmmm,"axG",@progbits,_ZL10k_get_rowsILi32ELi2EXadL_ZL15dequantize_q5_0PKvliR15HIP_vector_typeIfLj2EEEE14__hip_bfloat16EvS1_PKiPT2_llS2_IjLj3EEmmmmmmmmm,comdat
.Lfunc_end37:
	.size	_ZL10k_get_rowsILi32ELi2EXadL_ZL15dequantize_q5_0PKvliR15HIP_vector_typeIfLj2EEEE14__hip_bfloat16EvS1_PKiPT2_llS2_IjLj3EEmmmmmmmmm, .Lfunc_end37-_ZL10k_get_rowsILi32ELi2EXadL_ZL15dequantize_q5_0PKvliR15HIP_vector_typeIfLj2EEEE14__hip_bfloat16EvS1_PKiPT2_llS2_IjLj3EEmmmmmmmmm
                                        ; -- End function
	.set _ZL10k_get_rowsILi32ELi2EXadL_ZL15dequantize_q5_0PKvliR15HIP_vector_typeIfLj2EEEE14__hip_bfloat16EvS1_PKiPT2_llS2_IjLj3EEmmmmmmmmm.num_vgpr, 18
	.set _ZL10k_get_rowsILi32ELi2EXadL_ZL15dequantize_q5_0PKvliR15HIP_vector_typeIfLj2EEEE14__hip_bfloat16EvS1_PKiPT2_llS2_IjLj3EEmmmmmmmmm.num_agpr, 0
	.set _ZL10k_get_rowsILi32ELi2EXadL_ZL15dequantize_q5_0PKvliR15HIP_vector_typeIfLj2EEEE14__hip_bfloat16EvS1_PKiPT2_llS2_IjLj3EEmmmmmmmmm.numbered_sgpr, 52
	.set _ZL10k_get_rowsILi32ELi2EXadL_ZL15dequantize_q5_0PKvliR15HIP_vector_typeIfLj2EEEE14__hip_bfloat16EvS1_PKiPT2_llS2_IjLj3EEmmmmmmmmm.num_named_barrier, 0
	.set _ZL10k_get_rowsILi32ELi2EXadL_ZL15dequantize_q5_0PKvliR15HIP_vector_typeIfLj2EEEE14__hip_bfloat16EvS1_PKiPT2_llS2_IjLj3EEmmmmmmmmm.private_seg_size, 0
	.set _ZL10k_get_rowsILi32ELi2EXadL_ZL15dequantize_q5_0PKvliR15HIP_vector_typeIfLj2EEEE14__hip_bfloat16EvS1_PKiPT2_llS2_IjLj3EEmmmmmmmmm.uses_vcc, 1
	.set _ZL10k_get_rowsILi32ELi2EXadL_ZL15dequantize_q5_0PKvliR15HIP_vector_typeIfLj2EEEE14__hip_bfloat16EvS1_PKiPT2_llS2_IjLj3EEmmmmmmmmm.uses_flat_scratch, 0
	.set _ZL10k_get_rowsILi32ELi2EXadL_ZL15dequantize_q5_0PKvliR15HIP_vector_typeIfLj2EEEE14__hip_bfloat16EvS1_PKiPT2_llS2_IjLj3EEmmmmmmmmm.has_dyn_sized_stack, 0
	.set _ZL10k_get_rowsILi32ELi2EXadL_ZL15dequantize_q5_0PKvliR15HIP_vector_typeIfLj2EEEE14__hip_bfloat16EvS1_PKiPT2_llS2_IjLj3EEmmmmmmmmm.has_recursion, 0
	.set _ZL10k_get_rowsILi32ELi2EXadL_ZL15dequantize_q5_0PKvliR15HIP_vector_typeIfLj2EEEE14__hip_bfloat16EvS1_PKiPT2_llS2_IjLj3EEmmmmmmmmm.has_indirect_call, 0
	.section	.AMDGPU.csdata,"",@progbits
; Kernel info:
; codeLenInByte = 912
; TotalNumSgprs: 56
; NumVgprs: 18
; ScratchSize: 0
; MemoryBound: 0
; FloatMode: 240
; IeeeMode: 1
; LDSByteSize: 0 bytes/workgroup (compile time only)
; SGPRBlocks: 6
; VGPRBlocks: 4
; NumSGPRsForWavesPerEU: 56
; NumVGPRsForWavesPerEU: 18
; Occupancy: 10
; WaveLimiterHint : 1
; COMPUTE_PGM_RSRC2:SCRATCH_EN: 0
; COMPUTE_PGM_RSRC2:USER_SGPR: 6
; COMPUTE_PGM_RSRC2:TRAP_HANDLER: 0
; COMPUTE_PGM_RSRC2:TGID_X_EN: 1
; COMPUTE_PGM_RSRC2:TGID_Y_EN: 1
; COMPUTE_PGM_RSRC2:TGID_Z_EN: 1
; COMPUTE_PGM_RSRC2:TIDIG_COMP_CNT: 0
	.section	.text._ZL10k_get_rowsILi32ELi2EXadL_ZL15dequantize_q5_1PKvliR15HIP_vector_typeIfLj2EEEE14__hip_bfloat16EvS1_PKiPT2_llS2_IjLj3EEmmmmmmmmm,"axG",@progbits,_ZL10k_get_rowsILi32ELi2EXadL_ZL15dequantize_q5_1PKvliR15HIP_vector_typeIfLj2EEEE14__hip_bfloat16EvS1_PKiPT2_llS2_IjLj3EEmmmmmmmmm,comdat
	.globl	_ZL10k_get_rowsILi32ELi2EXadL_ZL15dequantize_q5_1PKvliR15HIP_vector_typeIfLj2EEEE14__hip_bfloat16EvS1_PKiPT2_llS2_IjLj3EEmmmmmmmmm ; -- Begin function _ZL10k_get_rowsILi32ELi2EXadL_ZL15dequantize_q5_1PKvliR15HIP_vector_typeIfLj2EEEE14__hip_bfloat16EvS1_PKiPT2_llS2_IjLj3EEmmmmmmmmm
	.p2align	8
	.type	_ZL10k_get_rowsILi32ELi2EXadL_ZL15dequantize_q5_1PKvliR15HIP_vector_typeIfLj2EEEE14__hip_bfloat16EvS1_PKiPT2_llS2_IjLj3EEmmmmmmmmm,@function
_ZL10k_get_rowsILi32ELi2EXadL_ZL15dequantize_q5_1PKvliR15HIP_vector_typeIfLj2EEEE14__hip_bfloat16EvS1_PKiPT2_llS2_IjLj3EEmmmmmmmmm: ; @_ZL10k_get_rowsILi32ELi2EXadL_ZL15dequantize_q5_1PKvliR15HIP_vector_typeIfLj2EEEE14__hip_bfloat16EvS1_PKiPT2_llS2_IjLj3EEmmmmmmmmm
; %bb.0:
	s_load_dwordx4 s[28:31], s[4:5], 0x18
	s_load_dwordx2 s[10:11], s[4:5], 0x2c
	s_mov_b32 s9, 0
	v_mov_b32_e32 v1, s8
	v_mov_b32_e32 v2, s9
	s_waitcnt lgkmcnt(0)
	s_mul_i32 s0, s31, s11
	s_mul_hi_u32 s1, s30, s11
	s_add_i32 s3, s1, s0
	s_mul_i32 s2, s30, s11
	v_cmp_le_i64_e32 vcc, s[2:3], v[1:2]
	s_cbranch_vccnz .LBB38_6
; %bb.1:
	s_load_dwordx4 s[36:39], s[4:5], 0x0
	s_load_dwordx2 s[40:41], s[4:5], 0x10
	s_load_dwordx2 s[30:31], s[4:5], 0x78
	;; [unrolled: 1-line block ×3, first 2 shown]
	s_load_dword s33, s[4:5], 0x28
	s_load_dwordx16 s[12:27], s[4:5], 0x38
	s_add_u32 s4, s4, 0x80
	s_addc_u32 s5, s5, 0
	s_waitcnt lgkmcnt(0)
	s_and_b32 s35, s35, 0xffff
	s_mul_i32 s7, s7, s35
	v_add_lshl_u32 v0, s7, v0, 1
	s_ashr_i32 s7, s6, 31
	s_mul_hi_u32 s42, s24, s6
	s_mul_i32 s43, s24, s7
	s_add_i32 s42, s42, s43
	s_mul_i32 s25, s25, s6
	s_add_i32 s25, s42, s25
	s_mul_i32 s24, s24, s6
	s_lshl_b64 s[24:25], s[24:25], 2
	s_add_u32 s42, s38, s24
	s_mul_hi_u32 s24, s12, s6
	s_mul_i32 s7, s12, s7
	s_addc_u32 s43, s39, s25
	s_add_i32 s7, s24, s7
	s_mul_i32 s13, s13, s6
	s_add_i32 s7, s7, s13
	s_mul_i32 s6, s12, s6
	v_mov_b32_e32 v1, 0
	s_lshl_b64 s[6:7], s[6:7], 1
	v_cmp_gt_i64_e64 s[0:1], s[28:29], v[0:1]
	s_add_u32 s44, s40, s6
	v_lshlrev_b64 v[2:3], 27, v[0:1]
	v_mov_b32_e32 v5, s3
	s_addc_u32 s45, s41, s7
	s_movk_i32 s46, 0x7fff
	s_movk_i32 s47, 0xffe0
	v_mov_b32_e32 v4, s2
	s_mov_b64 s[6:7], s[8:9]
	s_branch .LBB38_3
.LBB38_2:                               ;   in Loop: Header=BB38_3 Depth=1
	s_or_b64 exec, exec, s[12:13]
	s_add_u32 s6, s6, s34
	s_addc_u32 s7, s7, 0
	v_cmp_ge_i64_e32 vcc, s[6:7], v[4:5]
	s_cbranch_vccnz .LBB38_6
.LBB38_3:                               ; =>This Loop Header: Depth=1
                                        ;     Child Loop BB38_5 Depth 2
	s_and_saveexec_b64 s[12:13], s[0:1]
	s_cbranch_execz .LBB38_2
; %bb.4:                                ;   in Loop: Header=BB38_3 Depth=1
	s_mul_hi_u32 s2, s6, s33
	s_add_i32 s2, s2, s6
	s_lshr_b32 s8, s2, s10
	s_mul_i32 s2, s8, s11
	s_sub_i32 s38, s6, s2
	s_ashr_i32 s39, s8, 31
	s_mul_i32 s2, s26, s39
	s_mul_hi_u32 s3, s26, s8
	s_ashr_i32 s40, s38, 31
	s_add_i32 s2, s3, s2
	s_mul_i32 s3, s27, s8
	s_mul_i32 s24, s30, s40
	s_mul_hi_u32 s25, s30, s38
	s_add_i32 s3, s2, s3
	s_mul_i32 s2, s26, s8
	s_add_i32 s24, s25, s24
	s_mul_i32 s25, s31, s38
	s_add_i32 s25, s24, s25
	s_lshl_b64 s[2:3], s[2:3], 2
	s_mul_i32 s24, s30, s38
	s_add_u32 s41, s42, s2
	s_addc_u32 s48, s43, s3
	s_lshl_b64 s[2:3], s[24:25], 2
	s_add_u32 s2, s41, s2
	s_addc_u32 s3, s48, s3
	s_load_dword s24, s[2:3], 0x0
	s_mul_i32 s2, s14, s39
	s_mul_hi_u32 s3, s14, s8
	s_add_i32 s2, s3, s2
	s_mul_i32 s3, s15, s8
	s_add_i32 s3, s2, s3
	s_mul_i32 s2, s14, s8
	s_waitcnt lgkmcnt(0)
	s_ashr_i32 s25, s24, 31
	s_lshl_b64 s[2:3], s[2:3], 1
	s_add_u32 s41, s44, s2
	s_addc_u32 s49, s45, s3
	s_mul_i32 s2, s16, s40
	s_mul_hi_u32 s3, s16, s38
	s_add_i32 s2, s3, s2
	s_mul_i32 s3, s17, s38
	s_add_i32 s3, s2, s3
	s_mul_i32 s2, s16, s38
	s_lshl_b64 s[2:3], s[2:3], 1
	s_add_u32 s48, s41, s2
	s_addc_u32 s2, s49, s3
	s_mul_i32 s3, s18, s25
	s_mul_hi_u32 s25, s18, s24
	s_add_i32 s3, s25, s3
	s_mul_i32 s25, s19, s24
	s_add_i32 s3, s3, s25
	s_mul_i32 s24, s18, s24
	s_add_u32 s24, s36, s24
	s_mul_i32 s25, s20, s39
	s_mul_hi_u32 s39, s20, s8
	s_addc_u32 s3, s37, s3
	s_add_i32 s25, s39, s25
	s_mul_i32 s39, s21, s8
	s_add_i32 s25, s25, s39
	s_mul_i32 s8, s20, s8
	s_load_dword s39, s[4:5], 0x4
	s_add_u32 s8, s24, s8
	s_addc_u32 s3, s3, s25
	s_mul_i32 s24, s22, s40
	s_mul_hi_u32 s25, s22, s38
	s_add_i32 s24, s25, s24
	s_mul_i32 s25, s23, s38
	s_add_i32 s25, s24, s25
	s_mul_i32 s24, s22, s38
	s_add_u32 s24, s8, s24
	s_waitcnt lgkmcnt(0)
	s_mul_i32 s8, s39, s35
	s_addc_u32 s25, s3, s25
	s_lshl_b64 s[38:39], s[8:9], 27
	v_mov_b32_e32 v7, v3
	v_mov_b32_e32 v9, v1
	s_mov_b64 s[40:41], 0
	v_mov_b32_e32 v10, s2
	v_mov_b32_e32 v11, s39
	;; [unrolled: 1-line block ×4, first 2 shown]
.LBB38_5:                               ;   Parent Loop BB38_3 Depth=1
                                        ; =>  This Inner Loop Header: Depth=2
	v_mad_i64_i32 v[12:13], s[2:3], v7, 24, s[24:25]
	v_bfe_u32 v16, v8, 1, 4
	v_add_u32_e32 v18, 12, v16
	global_load_dwordx2 v[14:15], v[12:13], off
	v_add_co_u32_e32 v12, vcc, v12, v16
	v_addc_co_u32_e32 v13, vcc, 0, v13, vcc
	global_load_ubyte v17, v[12:13], off offset:8
	v_add_co_u32_e32 v6, vcc, s38, v6
	v_addc_co_u32_e32 v7, vcc, v7, v11, vcc
	v_and_or_b32 v12, v8, s47, v16
	v_add_co_u32_e32 v8, vcc, s8, v8
	v_addc_co_u32_e32 v9, vcc, 0, v9, vcc
	v_ashrrev_i32_e32 v13, 31, v12
	v_cmp_le_i64_e32 vcc, s[28:29], v[8:9]
	v_lshlrev_b64 v[12:13], 1, v[12:13]
	s_or_b64 s[40:41], vcc, s[40:41]
	v_add_co_u32_e32 v12, vcc, s48, v12
	v_addc_co_u32_e32 v13, vcc, v10, v13, vcc
	s_waitcnt vmcnt(1)
	v_lshrrev_b32_e32 v16, v16, v15
	v_lshrrev_b32_e32 v15, v18, v15
	v_lshlrev_b32_e32 v16, 4, v16
	s_waitcnt vmcnt(0)
	v_and_b32_e32 v18, 15, v17
	v_lshrrev_b16_e32 v17, 4, v17
	v_and_or_b32 v16, v16, 16, v18
	v_and_or_b32 v15, v15, 16, v17
	v_cvt_f32_ubyte0_e32 v16, v16
	v_cvt_f32_ubyte0_e32 v15, v15
	v_fma_mix_f32 v16, v14, v16, v14 op_sel:[0,0,1] op_sel_hi:[1,0,1]
	v_fma_mix_f32 v14, v14, v15, v14 op_sel:[0,0,1] op_sel_hi:[1,0,1]
	v_bfe_u32 v15, v16, 16, 1
	v_or_b32_e32 v17, 0x400000, v16
	v_bfe_u32 v18, v14, 16, 1
	v_add3_u32 v15, v15, v16, s46
	v_cmp_u_f32_e64 s[2:3], v16, v16
	v_or_b32_e32 v19, 0x400000, v14
	v_add3_u32 v18, v18, v14, s46
	v_cmp_u_f32_e32 vcc, v14, v14
	v_cndmask_b32_e64 v14, v15, v17, s[2:3]
	v_cndmask_b32_e32 v15, v18, v19, vcc
	global_store_short_d16_hi v[12:13], v14, off
	global_store_short_d16_hi v[12:13], v15, off offset:32
	s_andn2_b64 exec, exec, s[40:41]
	s_cbranch_execnz .LBB38_5
	s_branch .LBB38_2
.LBB38_6:
	s_endpgm
	.section	.rodata,"a",@progbits
	.p2align	6, 0x0
	.amdhsa_kernel _ZL10k_get_rowsILi32ELi2EXadL_ZL15dequantize_q5_1PKvliR15HIP_vector_typeIfLj2EEEE14__hip_bfloat16EvS1_PKiPT2_llS2_IjLj3EEmmmmmmmmm
		.amdhsa_group_segment_fixed_size 0
		.amdhsa_private_segment_fixed_size 0
		.amdhsa_kernarg_size 384
		.amdhsa_user_sgpr_count 6
		.amdhsa_user_sgpr_private_segment_buffer 1
		.amdhsa_user_sgpr_dispatch_ptr 0
		.amdhsa_user_sgpr_queue_ptr 0
		.amdhsa_user_sgpr_kernarg_segment_ptr 1
		.amdhsa_user_sgpr_dispatch_id 0
		.amdhsa_user_sgpr_flat_scratch_init 0
		.amdhsa_user_sgpr_private_segment_size 0
		.amdhsa_uses_dynamic_stack 0
		.amdhsa_system_sgpr_private_segment_wavefront_offset 0
		.amdhsa_system_sgpr_workgroup_id_x 1
		.amdhsa_system_sgpr_workgroup_id_y 1
		.amdhsa_system_sgpr_workgroup_id_z 1
		.amdhsa_system_sgpr_workgroup_info 0
		.amdhsa_system_vgpr_workitem_id 0
		.amdhsa_next_free_vgpr 20
		.amdhsa_next_free_sgpr 50
		.amdhsa_reserve_vcc 1
		.amdhsa_reserve_flat_scratch 0
		.amdhsa_float_round_mode_32 0
		.amdhsa_float_round_mode_16_64 0
		.amdhsa_float_denorm_mode_32 3
		.amdhsa_float_denorm_mode_16_64 3
		.amdhsa_dx10_clamp 1
		.amdhsa_ieee_mode 1
		.amdhsa_fp16_overflow 0
		.amdhsa_exception_fp_ieee_invalid_op 0
		.amdhsa_exception_fp_denorm_src 0
		.amdhsa_exception_fp_ieee_div_zero 0
		.amdhsa_exception_fp_ieee_overflow 0
		.amdhsa_exception_fp_ieee_underflow 0
		.amdhsa_exception_fp_ieee_inexact 0
		.amdhsa_exception_int_div_zero 0
	.end_amdhsa_kernel
	.section	.text._ZL10k_get_rowsILi32ELi2EXadL_ZL15dequantize_q5_1PKvliR15HIP_vector_typeIfLj2EEEE14__hip_bfloat16EvS1_PKiPT2_llS2_IjLj3EEmmmmmmmmm,"axG",@progbits,_ZL10k_get_rowsILi32ELi2EXadL_ZL15dequantize_q5_1PKvliR15HIP_vector_typeIfLj2EEEE14__hip_bfloat16EvS1_PKiPT2_llS2_IjLj3EEmmmmmmmmm,comdat
.Lfunc_end38:
	.size	_ZL10k_get_rowsILi32ELi2EXadL_ZL15dequantize_q5_1PKvliR15HIP_vector_typeIfLj2EEEE14__hip_bfloat16EvS1_PKiPT2_llS2_IjLj3EEmmmmmmmmm, .Lfunc_end38-_ZL10k_get_rowsILi32ELi2EXadL_ZL15dequantize_q5_1PKvliR15HIP_vector_typeIfLj2EEEE14__hip_bfloat16EvS1_PKiPT2_llS2_IjLj3EEmmmmmmmmm
                                        ; -- End function
	.set _ZL10k_get_rowsILi32ELi2EXadL_ZL15dequantize_q5_1PKvliR15HIP_vector_typeIfLj2EEEE14__hip_bfloat16EvS1_PKiPT2_llS2_IjLj3EEmmmmmmmmm.num_vgpr, 20
	.set _ZL10k_get_rowsILi32ELi2EXadL_ZL15dequantize_q5_1PKvliR15HIP_vector_typeIfLj2EEEE14__hip_bfloat16EvS1_PKiPT2_llS2_IjLj3EEmmmmmmmmm.num_agpr, 0
	.set _ZL10k_get_rowsILi32ELi2EXadL_ZL15dequantize_q5_1PKvliR15HIP_vector_typeIfLj2EEEE14__hip_bfloat16EvS1_PKiPT2_llS2_IjLj3EEmmmmmmmmm.numbered_sgpr, 50
	.set _ZL10k_get_rowsILi32ELi2EXadL_ZL15dequantize_q5_1PKvliR15HIP_vector_typeIfLj2EEEE14__hip_bfloat16EvS1_PKiPT2_llS2_IjLj3EEmmmmmmmmm.num_named_barrier, 0
	.set _ZL10k_get_rowsILi32ELi2EXadL_ZL15dequantize_q5_1PKvliR15HIP_vector_typeIfLj2EEEE14__hip_bfloat16EvS1_PKiPT2_llS2_IjLj3EEmmmmmmmmm.private_seg_size, 0
	.set _ZL10k_get_rowsILi32ELi2EXadL_ZL15dequantize_q5_1PKvliR15HIP_vector_typeIfLj2EEEE14__hip_bfloat16EvS1_PKiPT2_llS2_IjLj3EEmmmmmmmmm.uses_vcc, 1
	.set _ZL10k_get_rowsILi32ELi2EXadL_ZL15dequantize_q5_1PKvliR15HIP_vector_typeIfLj2EEEE14__hip_bfloat16EvS1_PKiPT2_llS2_IjLj3EEmmmmmmmmm.uses_flat_scratch, 0
	.set _ZL10k_get_rowsILi32ELi2EXadL_ZL15dequantize_q5_1PKvliR15HIP_vector_typeIfLj2EEEE14__hip_bfloat16EvS1_PKiPT2_llS2_IjLj3EEmmmmmmmmm.has_dyn_sized_stack, 0
	.set _ZL10k_get_rowsILi32ELi2EXadL_ZL15dequantize_q5_1PKvliR15HIP_vector_typeIfLj2EEEE14__hip_bfloat16EvS1_PKiPT2_llS2_IjLj3EEmmmmmmmmm.has_recursion, 0
	.set _ZL10k_get_rowsILi32ELi2EXadL_ZL15dequantize_q5_1PKvliR15HIP_vector_typeIfLj2EEEE14__hip_bfloat16EvS1_PKiPT2_llS2_IjLj3EEmmmmmmmmm.has_indirect_call, 0
	.section	.AMDGPU.csdata,"",@progbits
; Kernel info:
; codeLenInByte = 888
; TotalNumSgprs: 54
; NumVgprs: 20
; ScratchSize: 0
; MemoryBound: 0
; FloatMode: 240
; IeeeMode: 1
; LDSByteSize: 0 bytes/workgroup (compile time only)
; SGPRBlocks: 6
; VGPRBlocks: 4
; NumSGPRsForWavesPerEU: 54
; NumVGPRsForWavesPerEU: 20
; Occupancy: 10
; WaveLimiterHint : 1
; COMPUTE_PGM_RSRC2:SCRATCH_EN: 0
; COMPUTE_PGM_RSRC2:USER_SGPR: 6
; COMPUTE_PGM_RSRC2:TRAP_HANDLER: 0
; COMPUTE_PGM_RSRC2:TGID_X_EN: 1
; COMPUTE_PGM_RSRC2:TGID_Y_EN: 1
; COMPUTE_PGM_RSRC2:TGID_Z_EN: 1
; COMPUTE_PGM_RSRC2:TIDIG_COMP_CNT: 0
	.section	.text._ZL10k_get_rowsILi32ELi1EXadL_ZL15dequantize_q8_0PKvliR15HIP_vector_typeIfLj2EEEE14__hip_bfloat16EvS1_PKiPT2_llS2_IjLj3EEmmmmmmmmm,"axG",@progbits,_ZL10k_get_rowsILi32ELi1EXadL_ZL15dequantize_q8_0PKvliR15HIP_vector_typeIfLj2EEEE14__hip_bfloat16EvS1_PKiPT2_llS2_IjLj3EEmmmmmmmmm,comdat
	.globl	_ZL10k_get_rowsILi32ELi1EXadL_ZL15dequantize_q8_0PKvliR15HIP_vector_typeIfLj2EEEE14__hip_bfloat16EvS1_PKiPT2_llS2_IjLj3EEmmmmmmmmm ; -- Begin function _ZL10k_get_rowsILi32ELi1EXadL_ZL15dequantize_q8_0PKvliR15HIP_vector_typeIfLj2EEEE14__hip_bfloat16EvS1_PKiPT2_llS2_IjLj3EEmmmmmmmmm
	.p2align	8
	.type	_ZL10k_get_rowsILi32ELi1EXadL_ZL15dequantize_q8_0PKvliR15HIP_vector_typeIfLj2EEEE14__hip_bfloat16EvS1_PKiPT2_llS2_IjLj3EEmmmmmmmmm,@function
_ZL10k_get_rowsILi32ELi1EXadL_ZL15dequantize_q8_0PKvliR15HIP_vector_typeIfLj2EEEE14__hip_bfloat16EvS1_PKiPT2_llS2_IjLj3EEmmmmmmmmm: ; @_ZL10k_get_rowsILi32ELi1EXadL_ZL15dequantize_q8_0PKvliR15HIP_vector_typeIfLj2EEEE14__hip_bfloat16EvS1_PKiPT2_llS2_IjLj3EEmmmmmmmmm
; %bb.0:
	s_load_dwordx4 s[28:31], s[4:5], 0x18
	s_load_dwordx2 s[10:11], s[4:5], 0x2c
	s_mov_b32 s9, 0
	v_mov_b32_e32 v1, s8
	v_mov_b32_e32 v2, s9
	s_waitcnt lgkmcnt(0)
	s_mul_i32 s0, s31, s11
	s_mul_hi_u32 s1, s30, s11
	s_add_i32 s31, s1, s0
	s_mul_i32 s30, s30, s11
	v_cmp_le_i64_e32 vcc, s[30:31], v[1:2]
	s_cbranch_vccnz .LBB39_6
; %bb.1:
	s_load_dwordx4 s[36:39], s[4:5], 0x0
	s_load_dwordx2 s[2:3], s[4:5], 0x10
	s_load_dwordx2 s[34:35], s[4:5], 0x78
	;; [unrolled: 1-line block ×3, first 2 shown]
	s_load_dword s33, s[4:5], 0x28
	s_load_dwordx16 s[12:27], s[4:5], 0x38
	s_add_u32 s4, s4, 0x80
	s_addc_u32 s5, s5, 0
	s_waitcnt lgkmcnt(0)
	s_and_b32 s41, s41, 0xffff
	s_mul_i32 s7, s7, s41
	v_add_lshl_u32 v0, s7, v0, 1
	s_ashr_i32 s7, s6, 31
	s_mul_hi_u32 s42, s24, s6
	s_mul_i32 s43, s24, s7
	s_add_i32 s42, s42, s43
	s_mul_i32 s25, s25, s6
	s_add_i32 s25, s42, s25
	s_mul_i32 s24, s24, s6
	s_lshl_b64 s[24:25], s[24:25], 2
	s_add_u32 s44, s38, s24
	s_mul_hi_u32 s24, s12, s6
	s_mul_i32 s7, s12, s7
	s_addc_u32 s45, s39, s25
	s_add_i32 s7, s24, s7
	s_mul_i32 s13, s13, s6
	s_add_i32 s7, s7, s13
	s_mul_i32 s6, s12, s6
	v_mov_b32_e32 v1, 0
	s_lshl_b64 s[6:7], s[6:7], 1
	v_cmp_gt_i64_e64 s[0:1], s[28:29], v[0:1]
	s_add_u32 s46, s2, s6
	v_lshlrev_b64 v[2:3], 27, v[0:1]
	s_addc_u32 s47, s3, s7
	v_mov_b32_e32 v4, v1
	v_mov_b32_e32 v5, v0
	s_movk_i32 s48, 0x7fff
	s_mov_b32 s49, 0x7060302
	s_mov_b64 s[6:7], s[8:9]
	s_branch .LBB39_3
.LBB39_2:                               ;   in Loop: Header=BB39_3 Depth=1
	s_or_b64 exec, exec, s[12:13]
	s_add_u32 s6, s6, s40
	v_mov_b32_e32 v6, s30
	s_addc_u32 s7, s7, 0
	v_mov_b32_e32 v7, s31
	v_cmp_ge_i64_e32 vcc, s[6:7], v[6:7]
	s_cbranch_vccnz .LBB39_6
.LBB39_3:                               ; =>This Loop Header: Depth=1
                                        ;     Child Loop BB39_5 Depth 2
	s_and_saveexec_b64 s[12:13], s[0:1]
	s_cbranch_execz .LBB39_2
; %bb.4:                                ;   in Loop: Header=BB39_3 Depth=1
	s_mul_hi_u32 s2, s6, s33
	s_add_i32 s2, s2, s6
	s_lshr_b32 s8, s2, s10
	s_mul_i32 s2, s8, s11
	s_sub_i32 s38, s6, s2
	s_ashr_i32 s39, s8, 31
	s_mul_i32 s2, s26, s39
	s_mul_hi_u32 s3, s26, s8
	s_ashr_i32 s42, s38, 31
	s_add_i32 s2, s3, s2
	s_mul_i32 s3, s27, s8
	s_mul_i32 s24, s34, s42
	s_mul_hi_u32 s25, s34, s38
	s_add_i32 s3, s2, s3
	s_mul_i32 s2, s26, s8
	s_add_i32 s24, s25, s24
	s_mul_i32 s25, s35, s38
	s_add_i32 s25, s24, s25
	s_lshl_b64 s[2:3], s[2:3], 2
	s_mul_i32 s24, s34, s38
	s_add_u32 s43, s44, s2
	s_addc_u32 s50, s45, s3
	s_lshl_b64 s[2:3], s[24:25], 2
	s_add_u32 s2, s43, s2
	s_addc_u32 s3, s50, s3
	s_load_dword s24, s[2:3], 0x0
	s_mul_i32 s2, s14, s39
	s_mul_hi_u32 s3, s14, s8
	s_add_i32 s2, s3, s2
	s_mul_i32 s3, s15, s8
	s_add_i32 s3, s2, s3
	s_mul_i32 s2, s14, s8
	s_waitcnt lgkmcnt(0)
	s_ashr_i32 s25, s24, 31
	s_lshl_b64 s[2:3], s[2:3], 1
	s_add_u32 s43, s46, s2
	s_addc_u32 s51, s47, s3
	s_mul_i32 s2, s16, s42
	s_mul_hi_u32 s3, s16, s38
	s_add_i32 s2, s3, s2
	s_mul_i32 s3, s17, s38
	s_add_i32 s3, s2, s3
	s_mul_i32 s2, s16, s38
	s_lshl_b64 s[2:3], s[2:3], 1
	s_add_u32 s50, s43, s2
	s_addc_u32 s2, s51, s3
	s_mul_i32 s3, s18, s25
	s_mul_hi_u32 s25, s18, s24
	s_add_i32 s3, s25, s3
	s_mul_i32 s25, s19, s24
	s_add_i32 s3, s3, s25
	s_mul_i32 s24, s18, s24
	s_add_u32 s24, s36, s24
	s_mul_i32 s25, s20, s39
	s_mul_hi_u32 s39, s20, s8
	s_addc_u32 s3, s37, s3
	s_add_i32 s25, s39, s25
	s_mul_i32 s39, s21, s8
	s_add_i32 s25, s25, s39
	s_mul_i32 s8, s20, s8
	s_load_dword s39, s[4:5], 0x4
	s_add_u32 s8, s24, s8
	s_addc_u32 s3, s3, s25
	s_mul_i32 s24, s22, s42
	s_mul_hi_u32 s25, s22, s38
	s_add_i32 s24, s25, s24
	s_mul_i32 s25, s23, s38
	s_add_i32 s25, s24, s25
	s_mul_i32 s24, s22, s38
	s_add_u32 s24, s8, s24
	s_waitcnt lgkmcnt(0)
	s_mul_i32 s8, s39, s41
	s_addc_u32 s25, s3, s25
	s_lshl_b64 s[38:39], s[8:9], 27
	v_mov_b32_e32 v7, v5
	v_mov_b32_e32 v9, v3
	;; [unrolled: 1-line block ×3, first 2 shown]
	s_mov_b64 s[42:43], 0
	v_mov_b32_e32 v12, s2
	v_mov_b32_e32 v13, s39
	;; [unrolled: 1-line block ×6, first 2 shown]
.LBB39_5:                               ;   Parent Loop BB39_3 Depth=1
                                        ; =>  This Inner Loop Header: Depth=2
	v_mad_i64_i32 v[15:16], s[2:3], v9, 34, s[24:25]
	v_and_b32_e32 v17, 31, v10
	v_add_co_u32_e32 v17, vcc, v15, v17
	v_addc_co_u32_e32 v18, vcc, 0, v16, vcc
	global_load_ushort v19, v[15:16], off
	global_load_ushort v20, v[17:18], off offset:2
	v_add_co_u32_e32 v10, vcc, s8, v10
	v_addc_co_u32_e32 v11, vcc, 0, v11, vcc
	v_add_co_u32_e32 v8, vcc, s38, v8
	v_addc_co_u32_e32 v9, vcc, v9, v13, vcc
	v_ashrrev_i64 v[15:16], 31, v[6:7]
	v_add_co_u32_e32 v6, vcc, 0, v6
	v_addc_co_u32_e32 v7, vcc, v7, v14, vcc
	v_cmp_le_i64_e32 vcc, s[28:29], v[10:11]
	v_add_co_u32_e64 v15, s[2:3], s50, v15
	v_addc_co_u32_e64 v16, s[2:3], v12, v16, s[2:3]
	s_or_b64 s[42:43], vcc, s[42:43]
	s_waitcnt vmcnt(1)
	v_cvt_f32_f16_e32 v17, v19
	s_waitcnt vmcnt(0)
	v_bfe_i32 v18, v20, 0, 8
	v_ashrrev_i16_e32 v19, 8, v20
	v_cvt_f32_i32_sdwa v18, sext(v18) dst_sel:DWORD dst_unused:UNUSED_PAD src0_sel:WORD_0
	v_cvt_f32_i32_sdwa v19, sext(v19) dst_sel:DWORD dst_unused:UNUSED_PAD src0_sel:WORD_0
	v_mul_f32_e32 v18, v17, v18
	v_mul_f32_e32 v17, v17, v19
	v_bfe_u32 v19, v18, 16, 1
	v_bfe_u32 v21, v17, 16, 1
	v_or_b32_e32 v20, 0x400000, v18
	v_or_b32_e32 v22, 0x400000, v17
	v_add3_u32 v19, v19, v18, s48
	v_add3_u32 v21, v21, v17, s48
	v_cmp_u_f32_e32 vcc, v17, v17
	v_cmp_u_f32_e64 s[2:3], v18, v18
	v_cndmask_b32_e64 v17, v19, v20, s[2:3]
	v_cndmask_b32_e32 v18, v21, v22, vcc
	v_perm_b32 v17, v18, v17, s49
	global_store_dword v[15:16], v17, off
	s_andn2_b64 exec, exec, s[42:43]
	s_cbranch_execnz .LBB39_5
	s_branch .LBB39_2
.LBB39_6:
	s_endpgm
	.section	.rodata,"a",@progbits
	.p2align	6, 0x0
	.amdhsa_kernel _ZL10k_get_rowsILi32ELi1EXadL_ZL15dequantize_q8_0PKvliR15HIP_vector_typeIfLj2EEEE14__hip_bfloat16EvS1_PKiPT2_llS2_IjLj3EEmmmmmmmmm
		.amdhsa_group_segment_fixed_size 0
		.amdhsa_private_segment_fixed_size 0
		.amdhsa_kernarg_size 384
		.amdhsa_user_sgpr_count 6
		.amdhsa_user_sgpr_private_segment_buffer 1
		.amdhsa_user_sgpr_dispatch_ptr 0
		.amdhsa_user_sgpr_queue_ptr 0
		.amdhsa_user_sgpr_kernarg_segment_ptr 1
		.amdhsa_user_sgpr_dispatch_id 0
		.amdhsa_user_sgpr_flat_scratch_init 0
		.amdhsa_user_sgpr_private_segment_size 0
		.amdhsa_uses_dynamic_stack 0
		.amdhsa_system_sgpr_private_segment_wavefront_offset 0
		.amdhsa_system_sgpr_workgroup_id_x 1
		.amdhsa_system_sgpr_workgroup_id_y 1
		.amdhsa_system_sgpr_workgroup_id_z 1
		.amdhsa_system_sgpr_workgroup_info 0
		.amdhsa_system_vgpr_workitem_id 0
		.amdhsa_next_free_vgpr 23
		.amdhsa_next_free_sgpr 52
		.amdhsa_reserve_vcc 1
		.amdhsa_reserve_flat_scratch 0
		.amdhsa_float_round_mode_32 0
		.amdhsa_float_round_mode_16_64 0
		.amdhsa_float_denorm_mode_32 3
		.amdhsa_float_denorm_mode_16_64 3
		.amdhsa_dx10_clamp 1
		.amdhsa_ieee_mode 1
		.amdhsa_fp16_overflow 0
		.amdhsa_exception_fp_ieee_invalid_op 0
		.amdhsa_exception_fp_denorm_src 0
		.amdhsa_exception_fp_ieee_div_zero 0
		.amdhsa_exception_fp_ieee_overflow 0
		.amdhsa_exception_fp_ieee_underflow 0
		.amdhsa_exception_fp_ieee_inexact 0
		.amdhsa_exception_int_div_zero 0
	.end_amdhsa_kernel
	.section	.text._ZL10k_get_rowsILi32ELi1EXadL_ZL15dequantize_q8_0PKvliR15HIP_vector_typeIfLj2EEEE14__hip_bfloat16EvS1_PKiPT2_llS2_IjLj3EEmmmmmmmmm,"axG",@progbits,_ZL10k_get_rowsILi32ELi1EXadL_ZL15dequantize_q8_0PKvliR15HIP_vector_typeIfLj2EEEE14__hip_bfloat16EvS1_PKiPT2_llS2_IjLj3EEmmmmmmmmm,comdat
.Lfunc_end39:
	.size	_ZL10k_get_rowsILi32ELi1EXadL_ZL15dequantize_q8_0PKvliR15HIP_vector_typeIfLj2EEEE14__hip_bfloat16EvS1_PKiPT2_llS2_IjLj3EEmmmmmmmmm, .Lfunc_end39-_ZL10k_get_rowsILi32ELi1EXadL_ZL15dequantize_q8_0PKvliR15HIP_vector_typeIfLj2EEEE14__hip_bfloat16EvS1_PKiPT2_llS2_IjLj3EEmmmmmmmmm
                                        ; -- End function
	.set _ZL10k_get_rowsILi32ELi1EXadL_ZL15dequantize_q8_0PKvliR15HIP_vector_typeIfLj2EEEE14__hip_bfloat16EvS1_PKiPT2_llS2_IjLj3EEmmmmmmmmm.num_vgpr, 23
	.set _ZL10k_get_rowsILi32ELi1EXadL_ZL15dequantize_q8_0PKvliR15HIP_vector_typeIfLj2EEEE14__hip_bfloat16EvS1_PKiPT2_llS2_IjLj3EEmmmmmmmmm.num_agpr, 0
	.set _ZL10k_get_rowsILi32ELi1EXadL_ZL15dequantize_q8_0PKvliR15HIP_vector_typeIfLj2EEEE14__hip_bfloat16EvS1_PKiPT2_llS2_IjLj3EEmmmmmmmmm.numbered_sgpr, 52
	.set _ZL10k_get_rowsILi32ELi1EXadL_ZL15dequantize_q8_0PKvliR15HIP_vector_typeIfLj2EEEE14__hip_bfloat16EvS1_PKiPT2_llS2_IjLj3EEmmmmmmmmm.num_named_barrier, 0
	.set _ZL10k_get_rowsILi32ELi1EXadL_ZL15dequantize_q8_0PKvliR15HIP_vector_typeIfLj2EEEE14__hip_bfloat16EvS1_PKiPT2_llS2_IjLj3EEmmmmmmmmm.private_seg_size, 0
	.set _ZL10k_get_rowsILi32ELi1EXadL_ZL15dequantize_q8_0PKvliR15HIP_vector_typeIfLj2EEEE14__hip_bfloat16EvS1_PKiPT2_llS2_IjLj3EEmmmmmmmmm.uses_vcc, 1
	.set _ZL10k_get_rowsILi32ELi1EXadL_ZL15dequantize_q8_0PKvliR15HIP_vector_typeIfLj2EEEE14__hip_bfloat16EvS1_PKiPT2_llS2_IjLj3EEmmmmmmmmm.uses_flat_scratch, 0
	.set _ZL10k_get_rowsILi32ELi1EXadL_ZL15dequantize_q8_0PKvliR15HIP_vector_typeIfLj2EEEE14__hip_bfloat16EvS1_PKiPT2_llS2_IjLj3EEmmmmmmmmm.has_dyn_sized_stack, 0
	.set _ZL10k_get_rowsILi32ELi1EXadL_ZL15dequantize_q8_0PKvliR15HIP_vector_typeIfLj2EEEE14__hip_bfloat16EvS1_PKiPT2_llS2_IjLj3EEmmmmmmmmm.has_recursion, 0
	.set _ZL10k_get_rowsILi32ELi1EXadL_ZL15dequantize_q8_0PKvliR15HIP_vector_typeIfLj2EEEE14__hip_bfloat16EvS1_PKiPT2_llS2_IjLj3EEmmmmmmmmm.has_indirect_call, 0
	.section	.AMDGPU.csdata,"",@progbits
; Kernel info:
; codeLenInByte = 888
; TotalNumSgprs: 56
; NumVgprs: 23
; ScratchSize: 0
; MemoryBound: 0
; FloatMode: 240
; IeeeMode: 1
; LDSByteSize: 0 bytes/workgroup (compile time only)
; SGPRBlocks: 6
; VGPRBlocks: 5
; NumSGPRsForWavesPerEU: 56
; NumVGPRsForWavesPerEU: 23
; Occupancy: 10
; WaveLimiterHint : 1
; COMPUTE_PGM_RSRC2:SCRATCH_EN: 0
; COMPUTE_PGM_RSRC2:USER_SGPR: 6
; COMPUTE_PGM_RSRC2:TRAP_HANDLER: 0
; COMPUTE_PGM_RSRC2:TGID_X_EN: 1
; COMPUTE_PGM_RSRC2:TGID_Y_EN: 1
; COMPUTE_PGM_RSRC2:TGID_Z_EN: 1
; COMPUTE_PGM_RSRC2:TIDIG_COMP_CNT: 0
	.section	.text._ZL21k_get_rows_back_floatIffEvPKT_PKiPT0_ll,"axG",@progbits,_ZL21k_get_rows_back_floatIffEvPKT_PKiPT0_ll,comdat
	.globl	_ZL21k_get_rows_back_floatIffEvPKT_PKiPT0_ll ; -- Begin function _ZL21k_get_rows_back_floatIffEvPKT_PKiPT0_ll
	.p2align	8
	.type	_ZL21k_get_rows_back_floatIffEvPKT_PKiPT0_ll,@function
_ZL21k_get_rows_back_floatIffEvPKT_PKiPT0_ll: ; @_ZL21k_get_rows_back_floatIffEvPKT_PKiPT0_ll
; %bb.0:
	s_load_dword s8, s[4:5], 0x34
	s_load_dwordx4 s[0:3], s[4:5], 0x18
	s_add_u32 s10, s4, 40
	s_addc_u32 s11, s5, 0
	s_waitcnt lgkmcnt(0)
	s_and_b32 s8, s8, 0xffff
	s_mul_i32 s6, s6, s8
	v_add_u32_e32 v2, s6, v0
	v_ashrrev_i32_e32 v3, 31, v2
	v_cmp_gt_i64_e32 vcc, s[0:1], v[2:3]
	s_and_saveexec_b64 s[8:9], vcc
	s_cbranch_execz .LBB40_8
; %bb.1:
	s_load_dword s6, s[10:11], 0xc
	s_load_dwordx2 s[8:9], s[4:5], 0x10
	v_cmp_lt_i64_e64 s[10:11], s[2:3], 1
	v_lshlrev_b64 v[2:3], 2, v[2:3]
	s_and_b64 vcc, exec, s[10:11]
	s_waitcnt lgkmcnt(0)
	s_lshr_b32 s6, s6, 16
	s_mul_i32 s7, s7, s6
	v_add_u32_e32 v4, s7, v1
	s_cbranch_vccnz .LBB40_6
; %bb.2:
	s_load_dwordx4 s[4:7], s[4:5], 0x0
	s_lshl_b64 s[10:11], s[0:1], 2
	v_mov_b32_e32 v5, 0
	v_mov_b32_e32 v6, s11
	s_waitcnt lgkmcnt(0)
	v_mov_b32_e32 v1, s5
	v_add_co_u32_e32 v0, vcc, s4, v2
	v_addc_co_u32_e32 v1, vcc, v1, v3, vcc
	s_branch .LBB40_4
.LBB40_3:                               ;   in Loop: Header=BB40_4 Depth=1
	s_or_b64 exec, exec, s[4:5]
	s_add_u32 s2, s2, -1
	s_addc_u32 s3, s3, -1
	s_add_u32 s6, s6, 4
	s_addc_u32 s7, s7, 0
	v_add_co_u32_e32 v0, vcc, s10, v0
	s_cmp_eq_u64 s[2:3], 0
	v_addc_co_u32_e32 v1, vcc, v1, v6, vcc
	s_cbranch_scc1 .LBB40_7
.LBB40_4:                               ; =>This Inner Loop Header: Depth=1
	s_load_dword s4, s[6:7], 0x0
	s_waitcnt lgkmcnt(0)
	v_cmp_eq_u32_e32 vcc, s4, v4
	s_and_saveexec_b64 s[4:5], vcc
	s_cbranch_execz .LBB40_3
; %bb.5:                                ;   in Loop: Header=BB40_4 Depth=1
	global_load_dword v7, v[0:1], off
	s_waitcnt vmcnt(0)
	v_add_f32_e32 v5, v5, v7
	s_branch .LBB40_3
.LBB40_6:
	v_mov_b32_e32 v5, 0
.LBB40_7:
	v_ashrrev_i32_e32 v6, 31, v4
	v_mul_lo_u32 v7, s1, v4
	v_mad_u64_u32 v[0:1], s[2:3], s0, v4, 0
	v_mul_lo_u32 v4, s0, v6
	v_add3_u32 v1, v1, v4, v7
	v_lshlrev_b64 v[0:1], 2, v[0:1]
	v_mov_b32_e32 v4, s9
	v_add_co_u32_e32 v0, vcc, s8, v0
	v_addc_co_u32_e32 v1, vcc, v4, v1, vcc
	v_add_co_u32_e32 v0, vcc, v0, v2
	v_addc_co_u32_e32 v1, vcc, v1, v3, vcc
	global_store_dword v[0:1], v5, off
.LBB40_8:
	s_endpgm
	.section	.rodata,"a",@progbits
	.p2align	6, 0x0
	.amdhsa_kernel _ZL21k_get_rows_back_floatIffEvPKT_PKiPT0_ll
		.amdhsa_group_segment_fixed_size 0
		.amdhsa_private_segment_fixed_size 0
		.amdhsa_kernarg_size 296
		.amdhsa_user_sgpr_count 6
		.amdhsa_user_sgpr_private_segment_buffer 1
		.amdhsa_user_sgpr_dispatch_ptr 0
		.amdhsa_user_sgpr_queue_ptr 0
		.amdhsa_user_sgpr_kernarg_segment_ptr 1
		.amdhsa_user_sgpr_dispatch_id 0
		.amdhsa_user_sgpr_flat_scratch_init 0
		.amdhsa_user_sgpr_private_segment_size 0
		.amdhsa_uses_dynamic_stack 0
		.amdhsa_system_sgpr_private_segment_wavefront_offset 0
		.amdhsa_system_sgpr_workgroup_id_x 1
		.amdhsa_system_sgpr_workgroup_id_y 1
		.amdhsa_system_sgpr_workgroup_id_z 0
		.amdhsa_system_sgpr_workgroup_info 0
		.amdhsa_system_vgpr_workitem_id 1
		.amdhsa_next_free_vgpr 8
		.amdhsa_next_free_sgpr 12
		.amdhsa_reserve_vcc 1
		.amdhsa_reserve_flat_scratch 0
		.amdhsa_float_round_mode_32 0
		.amdhsa_float_round_mode_16_64 0
		.amdhsa_float_denorm_mode_32 3
		.amdhsa_float_denorm_mode_16_64 3
		.amdhsa_dx10_clamp 1
		.amdhsa_ieee_mode 1
		.amdhsa_fp16_overflow 0
		.amdhsa_exception_fp_ieee_invalid_op 0
		.amdhsa_exception_fp_denorm_src 0
		.amdhsa_exception_fp_ieee_div_zero 0
		.amdhsa_exception_fp_ieee_overflow 0
		.amdhsa_exception_fp_ieee_underflow 0
		.amdhsa_exception_fp_ieee_inexact 0
		.amdhsa_exception_int_div_zero 0
	.end_amdhsa_kernel
	.section	.text._ZL21k_get_rows_back_floatIffEvPKT_PKiPT0_ll,"axG",@progbits,_ZL21k_get_rows_back_floatIffEvPKT_PKiPT0_ll,comdat
.Lfunc_end40:
	.size	_ZL21k_get_rows_back_floatIffEvPKT_PKiPT0_ll, .Lfunc_end40-_ZL21k_get_rows_back_floatIffEvPKT_PKiPT0_ll
                                        ; -- End function
	.set _ZL21k_get_rows_back_floatIffEvPKT_PKiPT0_ll.num_vgpr, 8
	.set _ZL21k_get_rows_back_floatIffEvPKT_PKiPT0_ll.num_agpr, 0
	.set _ZL21k_get_rows_back_floatIffEvPKT_PKiPT0_ll.numbered_sgpr, 12
	.set _ZL21k_get_rows_back_floatIffEvPKT_PKiPT0_ll.num_named_barrier, 0
	.set _ZL21k_get_rows_back_floatIffEvPKT_PKiPT0_ll.private_seg_size, 0
	.set _ZL21k_get_rows_back_floatIffEvPKT_PKiPT0_ll.uses_vcc, 1
	.set _ZL21k_get_rows_back_floatIffEvPKT_PKiPT0_ll.uses_flat_scratch, 0
	.set _ZL21k_get_rows_back_floatIffEvPKT_PKiPT0_ll.has_dyn_sized_stack, 0
	.set _ZL21k_get_rows_back_floatIffEvPKT_PKiPT0_ll.has_recursion, 0
	.set _ZL21k_get_rows_back_floatIffEvPKT_PKiPT0_ll.has_indirect_call, 0
	.section	.AMDGPU.csdata,"",@progbits
; Kernel info:
; codeLenInByte = 316
; TotalNumSgprs: 16
; NumVgprs: 8
; ScratchSize: 0
; MemoryBound: 0
; FloatMode: 240
; IeeeMode: 1
; LDSByteSize: 0 bytes/workgroup (compile time only)
; SGPRBlocks: 1
; VGPRBlocks: 1
; NumSGPRsForWavesPerEU: 16
; NumVGPRsForWavesPerEU: 8
; Occupancy: 10
; WaveLimiterHint : 0
; COMPUTE_PGM_RSRC2:SCRATCH_EN: 0
; COMPUTE_PGM_RSRC2:USER_SGPR: 6
; COMPUTE_PGM_RSRC2:TRAP_HANDLER: 0
; COMPUTE_PGM_RSRC2:TGID_X_EN: 1
; COMPUTE_PGM_RSRC2:TGID_Y_EN: 1
; COMPUTE_PGM_RSRC2:TGID_Z_EN: 0
; COMPUTE_PGM_RSRC2:TIDIG_COMP_CNT: 1
	.section	.AMDGPU.gpr_maximums,"",@progbits
	.set amdgpu.max_num_vgpr, 0
	.set amdgpu.max_num_agpr, 0
	.set amdgpu.max_num_sgpr, 0
	.section	.AMDGPU.csdata,"",@progbits
	.type	__hip_cuid_f6c68421bbccc425,@object ; @__hip_cuid_f6c68421bbccc425
	.section	.bss,"aw",@nobits
	.globl	__hip_cuid_f6c68421bbccc425
__hip_cuid_f6c68421bbccc425:
	.byte	0                               ; 0x0
	.size	__hip_cuid_f6c68421bbccc425, 1

	.ident	"AMD clang version 22.0.0git (https://github.com/RadeonOpenCompute/llvm-project roc-7.2.4 26084 f58b06dce1f9c15707c5f808fd002e18c2accf7e)"
	.section	".note.GNU-stack","",@progbits
	.addrsig
	.addrsig_sym __hip_cuid_f6c68421bbccc425
	.amdgpu_metadata
---
amdhsa.kernels:
  - .args:
      - .address_space:  global
        .offset:         0
        .size:           8
        .value_kind:     global_buffer
      - .address_space:  global
        .offset:         8
        .size:           8
        .value_kind:     global_buffer
      - .address_space:  global
        .offset:         16
        .size:           8
        .value_kind:     global_buffer
      - .offset:         24
        .size:           8
        .value_kind:     by_value
      - .offset:         32
        .size:           8
        .value_kind:     by_value
      - .offset:         40
        .size:           12
        .value_kind:     by_value
      - .offset:         56
        .size:           8
        .value_kind:     by_value
      - .offset:         64
        .size:           8
        .value_kind:     by_value
      - .offset:         72
        .size:           8
        .value_kind:     by_value
      - .offset:         80
        .size:           8
        .value_kind:     by_value
      - .offset:         88
        .size:           8
        .value_kind:     by_value
      - .offset:         96
        .size:           8
        .value_kind:     by_value
      - .offset:         104
        .size:           8
        .value_kind:     by_value
      - .offset:         112
        .size:           8
        .value_kind:     by_value
      - .offset:         120
        .size:           8
        .value_kind:     by_value
      - .offset:         128
        .size:           4
        .value_kind:     hidden_block_count_x
      - .offset:         132
        .size:           4
        .value_kind:     hidden_block_count_y
      - .offset:         136
        .size:           4
        .value_kind:     hidden_block_count_z
      - .offset:         140
        .size:           2
        .value_kind:     hidden_group_size_x
      - .offset:         142
        .size:           2
        .value_kind:     hidden_group_size_y
      - .offset:         144
        .size:           2
        .value_kind:     hidden_group_size_z
      - .offset:         146
        .size:           2
        .value_kind:     hidden_remainder_x
      - .offset:         148
        .size:           2
        .value_kind:     hidden_remainder_y
      - .offset:         150
        .size:           2
        .value_kind:     hidden_remainder_z
      - .offset:         168
        .size:           8
        .value_kind:     hidden_global_offset_x
      - .offset:         176
        .size:           8
        .value_kind:     hidden_global_offset_y
      - .offset:         184
        .size:           8
        .value_kind:     hidden_global_offset_z
      - .offset:         192
        .size:           2
        .value_kind:     hidden_grid_dims
    .group_segment_fixed_size: 0
    .kernarg_segment_align: 8
    .kernarg_segment_size: 384
    .language:       OpenCL C
    .language_version:
      - 2
      - 0
    .max_flat_workgroup_size: 1024
    .name:           _ZL16k_get_rows_floatI6__halffEvPKT_PKiPT0_ll15HIP_vector_typeIjLj3EEmmmmmmmmm
    .private_segment_fixed_size: 0
    .sgpr_count:     48
    .sgpr_spill_count: 0
    .symbol:         _ZL16k_get_rows_floatI6__halffEvPKT_PKiPT0_ll15HIP_vector_typeIjLj3EEmmmmmmmmm.kd
    .uniform_work_group_size: 1
    .uses_dynamic_stack: false
    .vgpr_count:     17
    .vgpr_spill_count: 0
    .wavefront_size: 64
  - .args:
      - .address_space:  global
        .offset:         0
        .size:           8
        .value_kind:     global_buffer
      - .address_space:  global
        .offset:         8
        .size:           8
        .value_kind:     global_buffer
      - .address_space:  global
        .offset:         16
        .size:           8
        .value_kind:     global_buffer
      - .offset:         24
        .size:           8
        .value_kind:     by_value
      - .offset:         32
        .size:           8
        .value_kind:     by_value
      - .offset:         40
        .size:           12
        .value_kind:     by_value
      - .offset:         56
        .size:           8
        .value_kind:     by_value
      - .offset:         64
        .size:           8
        .value_kind:     by_value
      - .offset:         72
        .size:           8
        .value_kind:     by_value
      - .offset:         80
        .size:           8
        .value_kind:     by_value
      - .offset:         88
        .size:           8
        .value_kind:     by_value
      - .offset:         96
        .size:           8
        .value_kind:     by_value
      - .offset:         104
        .size:           8
        .value_kind:     by_value
      - .offset:         112
        .size:           8
        .value_kind:     by_value
      - .offset:         120
        .size:           8
        .value_kind:     by_value
      - .offset:         128
        .size:           4
        .value_kind:     hidden_block_count_x
      - .offset:         132
        .size:           4
        .value_kind:     hidden_block_count_y
      - .offset:         136
        .size:           4
        .value_kind:     hidden_block_count_z
      - .offset:         140
        .size:           2
        .value_kind:     hidden_group_size_x
      - .offset:         142
        .size:           2
        .value_kind:     hidden_group_size_y
      - .offset:         144
        .size:           2
        .value_kind:     hidden_group_size_z
      - .offset:         146
        .size:           2
        .value_kind:     hidden_remainder_x
      - .offset:         148
        .size:           2
        .value_kind:     hidden_remainder_y
      - .offset:         150
        .size:           2
        .value_kind:     hidden_remainder_z
      - .offset:         168
        .size:           8
        .value_kind:     hidden_global_offset_x
      - .offset:         176
        .size:           8
        .value_kind:     hidden_global_offset_y
      - .offset:         184
        .size:           8
        .value_kind:     hidden_global_offset_z
      - .offset:         192
        .size:           2
        .value_kind:     hidden_grid_dims
    .group_segment_fixed_size: 0
    .kernarg_segment_align: 8
    .kernarg_segment_size: 384
    .language:       OpenCL C
    .language_version:
      - 2
      - 0
    .max_flat_workgroup_size: 1024
    .name:           _ZL16k_get_rows_floatIffEvPKT_PKiPT0_ll15HIP_vector_typeIjLj3EEmmmmmmmmm
    .private_segment_fixed_size: 0
    .sgpr_count:     48
    .sgpr_spill_count: 0
    .symbol:         _ZL16k_get_rows_floatIffEvPKT_PKiPT0_ll15HIP_vector_typeIjLj3EEmmmmmmmmm.kd
    .uniform_work_group_size: 1
    .uses_dynamic_stack: false
    .vgpr_count:     18
    .vgpr_spill_count: 0
    .wavefront_size: 64
  - .args:
      - .address_space:  global
        .offset:         0
        .size:           8
        .value_kind:     global_buffer
      - .address_space:  global
        .offset:         8
        .size:           8
        .value_kind:     global_buffer
      - .address_space:  global
        .offset:         16
        .size:           8
        .value_kind:     global_buffer
      - .offset:         24
        .size:           8
        .value_kind:     by_value
      - .offset:         32
        .size:           8
        .value_kind:     by_value
      - .offset:         40
        .size:           12
        .value_kind:     by_value
      - .offset:         56
        .size:           8
        .value_kind:     by_value
      - .offset:         64
        .size:           8
        .value_kind:     by_value
      - .offset:         72
        .size:           8
        .value_kind:     by_value
      - .offset:         80
        .size:           8
        .value_kind:     by_value
      - .offset:         88
        .size:           8
        .value_kind:     by_value
      - .offset:         96
        .size:           8
        .value_kind:     by_value
      - .offset:         104
        .size:           8
        .value_kind:     by_value
      - .offset:         112
        .size:           8
        .value_kind:     by_value
      - .offset:         120
        .size:           8
        .value_kind:     by_value
      - .offset:         128
        .size:           4
        .value_kind:     hidden_block_count_x
      - .offset:         132
        .size:           4
        .value_kind:     hidden_block_count_y
      - .offset:         136
        .size:           4
        .value_kind:     hidden_block_count_z
      - .offset:         140
        .size:           2
        .value_kind:     hidden_group_size_x
      - .offset:         142
        .size:           2
        .value_kind:     hidden_group_size_y
      - .offset:         144
        .size:           2
        .value_kind:     hidden_group_size_z
      - .offset:         146
        .size:           2
        .value_kind:     hidden_remainder_x
      - .offset:         148
        .size:           2
        .value_kind:     hidden_remainder_y
      - .offset:         150
        .size:           2
        .value_kind:     hidden_remainder_z
      - .offset:         168
        .size:           8
        .value_kind:     hidden_global_offset_x
      - .offset:         176
        .size:           8
        .value_kind:     hidden_global_offset_y
      - .offset:         184
        .size:           8
        .value_kind:     hidden_global_offset_z
      - .offset:         192
        .size:           2
        .value_kind:     hidden_grid_dims
    .group_segment_fixed_size: 0
    .kernarg_segment_align: 8
    .kernarg_segment_size: 384
    .language:       OpenCL C
    .language_version:
      - 2
      - 0
    .max_flat_workgroup_size: 1024
    .name:           _ZL16k_get_rows_floatIifEvPKT_PKiPT0_ll15HIP_vector_typeIjLj3EEmmmmmmmmm
    .private_segment_fixed_size: 0
    .sgpr_count:     48
    .sgpr_spill_count: 0
    .symbol:         _ZL16k_get_rows_floatIifEvPKT_PKiPT0_ll15HIP_vector_typeIjLj3EEmmmmmmmmm.kd
    .uniform_work_group_size: 1
    .uses_dynamic_stack: false
    .vgpr_count:     18
    .vgpr_spill_count: 0
    .wavefront_size: 64
  - .args:
      - .address_space:  global
        .offset:         0
        .size:           8
        .value_kind:     global_buffer
      - .address_space:  global
        .offset:         8
        .size:           8
        .value_kind:     global_buffer
      - .address_space:  global
        .offset:         16
        .size:           8
        .value_kind:     global_buffer
      - .offset:         24
        .size:           8
        .value_kind:     by_value
      - .offset:         32
        .size:           8
        .value_kind:     by_value
      - .offset:         40
        .size:           12
        .value_kind:     by_value
      - .offset:         56
        .size:           8
        .value_kind:     by_value
      - .offset:         64
        .size:           8
        .value_kind:     by_value
      - .offset:         72
        .size:           8
        .value_kind:     by_value
      - .offset:         80
        .size:           8
        .value_kind:     by_value
      - .offset:         88
        .size:           8
        .value_kind:     by_value
      - .offset:         96
        .size:           8
        .value_kind:     by_value
      - .offset:         104
        .size:           8
        .value_kind:     by_value
      - .offset:         112
        .size:           8
        .value_kind:     by_value
      - .offset:         120
        .size:           8
        .value_kind:     by_value
      - .offset:         128
        .size:           4
        .value_kind:     hidden_block_count_x
      - .offset:         132
        .size:           4
        .value_kind:     hidden_block_count_y
      - .offset:         136
        .size:           4
        .value_kind:     hidden_block_count_z
      - .offset:         140
        .size:           2
        .value_kind:     hidden_group_size_x
      - .offset:         142
        .size:           2
        .value_kind:     hidden_group_size_y
      - .offset:         144
        .size:           2
        .value_kind:     hidden_group_size_z
      - .offset:         146
        .size:           2
        .value_kind:     hidden_remainder_x
      - .offset:         148
        .size:           2
        .value_kind:     hidden_remainder_y
      - .offset:         150
        .size:           2
        .value_kind:     hidden_remainder_z
      - .offset:         168
        .size:           8
        .value_kind:     hidden_global_offset_x
      - .offset:         176
        .size:           8
        .value_kind:     hidden_global_offset_y
      - .offset:         184
        .size:           8
        .value_kind:     hidden_global_offset_z
      - .offset:         192
        .size:           2
        .value_kind:     hidden_grid_dims
    .group_segment_fixed_size: 0
    .kernarg_segment_align: 8
    .kernarg_segment_size: 384
    .language:       OpenCL C
    .language_version:
      - 2
      - 0
    .max_flat_workgroup_size: 1024
    .name:           _ZL16k_get_rows_floatI14__hip_bfloat16fEvPKT_PKiPT0_ll15HIP_vector_typeIjLj3EEmmmmmmmmm
    .private_segment_fixed_size: 0
    .sgpr_count:     48
    .sgpr_spill_count: 0
    .symbol:         _ZL16k_get_rows_floatI14__hip_bfloat16fEvPKT_PKiPT0_ll15HIP_vector_typeIjLj3EEmmmmmmmmm.kd
    .uniform_work_group_size: 1
    .uses_dynamic_stack: false
    .vgpr_count:     17
    .vgpr_spill_count: 0
    .wavefront_size: 64
  - .args:
      - .actual_access:  read_only
        .address_space:  global
        .offset:         0
        .size:           8
        .value_kind:     global_buffer
      - .actual_access:  read_only
        .address_space:  global
        .offset:         8
        .size:           8
        .value_kind:     global_buffer
      - .actual_access:  write_only
        .address_space:  global
        .offset:         16
        .size:           8
        .value_kind:     global_buffer
      - .offset:         24
        .size:           8
        .value_kind:     by_value
      - .offset:         32
        .size:           8
        .value_kind:     by_value
      - .offset:         40
        .size:           12
        .value_kind:     by_value
      - .offset:         56
        .size:           8
        .value_kind:     by_value
      - .offset:         64
        .size:           8
        .value_kind:     by_value
      - .offset:         72
        .size:           8
        .value_kind:     by_value
      - .offset:         80
        .size:           8
        .value_kind:     by_value
      - .offset:         88
        .size:           8
        .value_kind:     by_value
      - .offset:         96
        .size:           8
        .value_kind:     by_value
      - .offset:         104
        .size:           8
        .value_kind:     by_value
      - .offset:         112
        .size:           8
        .value_kind:     by_value
      - .offset:         120
        .size:           8
        .value_kind:     by_value
      - .offset:         128
        .size:           4
        .value_kind:     hidden_block_count_x
      - .offset:         132
        .size:           4
        .value_kind:     hidden_block_count_y
      - .offset:         136
        .size:           4
        .value_kind:     hidden_block_count_z
      - .offset:         140
        .size:           2
        .value_kind:     hidden_group_size_x
      - .offset:         142
        .size:           2
        .value_kind:     hidden_group_size_y
      - .offset:         144
        .size:           2
        .value_kind:     hidden_group_size_z
      - .offset:         146
        .size:           2
        .value_kind:     hidden_remainder_x
      - .offset:         148
        .size:           2
        .value_kind:     hidden_remainder_y
      - .offset:         150
        .size:           2
        .value_kind:     hidden_remainder_z
      - .offset:         168
        .size:           8
        .value_kind:     hidden_global_offset_x
      - .offset:         176
        .size:           8
        .value_kind:     hidden_global_offset_y
      - .offset:         184
        .size:           8
        .value_kind:     hidden_global_offset_z
      - .offset:         192
        .size:           2
        .value_kind:     hidden_grid_dims
    .group_segment_fixed_size: 0
    .kernarg_segment_align: 8
    .kernarg_segment_size: 384
    .language:       OpenCL C
    .language_version:
      - 2
      - 0
    .max_flat_workgroup_size: 1024
    .name:           _ZL10k_get_rowsILi128ELi1EXadL_ZL15dequantize_q1_0PKvliR15HIP_vector_typeIfLj2EEEEfEvS1_PKiPT2_llS2_IjLj3EEmmmmmmmmm
    .private_segment_fixed_size: 0
    .sgpr_count:     54
    .sgpr_spill_count: 0
    .symbol:         _ZL10k_get_rowsILi128ELi1EXadL_ZL15dequantize_q1_0PKvliR15HIP_vector_typeIfLj2EEEEfEvS1_PKiPT2_llS2_IjLj3EEmmmmmmmmm.kd
    .uniform_work_group_size: 1
    .uses_dynamic_stack: false
    .vgpr_count:     25
    .vgpr_spill_count: 0
    .wavefront_size: 64
  - .args:
      - .actual_access:  read_only
        .address_space:  global
        .offset:         0
        .size:           8
        .value_kind:     global_buffer
      - .actual_access:  read_only
        .address_space:  global
        .offset:         8
        .size:           8
        .value_kind:     global_buffer
      - .actual_access:  write_only
        .address_space:  global
        .offset:         16
        .size:           8
        .value_kind:     global_buffer
      - .offset:         24
        .size:           8
        .value_kind:     by_value
      - .offset:         32
        .size:           8
        .value_kind:     by_value
      - .offset:         40
        .size:           12
        .value_kind:     by_value
      - .offset:         56
        .size:           8
        .value_kind:     by_value
      - .offset:         64
        .size:           8
        .value_kind:     by_value
      - .offset:         72
        .size:           8
        .value_kind:     by_value
      - .offset:         80
        .size:           8
        .value_kind:     by_value
      - .offset:         88
        .size:           8
        .value_kind:     by_value
      - .offset:         96
        .size:           8
        .value_kind:     by_value
      - .offset:         104
        .size:           8
        .value_kind:     by_value
      - .offset:         112
        .size:           8
        .value_kind:     by_value
      - .offset:         120
        .size:           8
        .value_kind:     by_value
      - .offset:         128
        .size:           4
        .value_kind:     hidden_block_count_x
      - .offset:         132
        .size:           4
        .value_kind:     hidden_block_count_y
      - .offset:         136
        .size:           4
        .value_kind:     hidden_block_count_z
      - .offset:         140
        .size:           2
        .value_kind:     hidden_group_size_x
      - .offset:         142
        .size:           2
        .value_kind:     hidden_group_size_y
      - .offset:         144
        .size:           2
        .value_kind:     hidden_group_size_z
      - .offset:         146
        .size:           2
        .value_kind:     hidden_remainder_x
      - .offset:         148
        .size:           2
        .value_kind:     hidden_remainder_y
      - .offset:         150
        .size:           2
        .value_kind:     hidden_remainder_z
      - .offset:         168
        .size:           8
        .value_kind:     hidden_global_offset_x
      - .offset:         176
        .size:           8
        .value_kind:     hidden_global_offset_y
      - .offset:         184
        .size:           8
        .value_kind:     hidden_global_offset_z
      - .offset:         192
        .size:           2
        .value_kind:     hidden_grid_dims
    .group_segment_fixed_size: 0
    .kernarg_segment_align: 8
    .kernarg_segment_size: 384
    .language:       OpenCL C
    .language_version:
      - 2
      - 0
    .max_flat_workgroup_size: 1024
    .name:           _ZL10k_get_rowsILi32ELi2EXadL_ZL15dequantize_q4_0PKvliR15HIP_vector_typeIfLj2EEEEfEvS1_PKiPT2_llS2_IjLj3EEmmmmmmmmm
    .private_segment_fixed_size: 0
    .sgpr_count:     52
    .sgpr_spill_count: 0
    .symbol:         _ZL10k_get_rowsILi32ELi2EXadL_ZL15dequantize_q4_0PKvliR15HIP_vector_typeIfLj2EEEEfEvS1_PKiPT2_llS2_IjLj3EEmmmmmmmmm.kd
    .uniform_work_group_size: 1
    .uses_dynamic_stack: false
    .vgpr_count:     19
    .vgpr_spill_count: 0
    .wavefront_size: 64
  - .args:
      - .actual_access:  read_only
        .address_space:  global
        .offset:         0
        .size:           8
        .value_kind:     global_buffer
      - .actual_access:  read_only
        .address_space:  global
        .offset:         8
        .size:           8
        .value_kind:     global_buffer
      - .actual_access:  write_only
        .address_space:  global
        .offset:         16
        .size:           8
        .value_kind:     global_buffer
      - .offset:         24
        .size:           8
        .value_kind:     by_value
      - .offset:         32
        .size:           8
        .value_kind:     by_value
      - .offset:         40
        .size:           12
        .value_kind:     by_value
      - .offset:         56
        .size:           8
        .value_kind:     by_value
      - .offset:         64
        .size:           8
        .value_kind:     by_value
      - .offset:         72
        .size:           8
        .value_kind:     by_value
      - .offset:         80
        .size:           8
        .value_kind:     by_value
      - .offset:         88
        .size:           8
        .value_kind:     by_value
      - .offset:         96
        .size:           8
        .value_kind:     by_value
      - .offset:         104
        .size:           8
        .value_kind:     by_value
      - .offset:         112
        .size:           8
        .value_kind:     by_value
      - .offset:         120
        .size:           8
        .value_kind:     by_value
      - .offset:         128
        .size:           4
        .value_kind:     hidden_block_count_x
      - .offset:         132
        .size:           4
        .value_kind:     hidden_block_count_y
      - .offset:         136
        .size:           4
        .value_kind:     hidden_block_count_z
      - .offset:         140
        .size:           2
        .value_kind:     hidden_group_size_x
      - .offset:         142
        .size:           2
        .value_kind:     hidden_group_size_y
      - .offset:         144
        .size:           2
        .value_kind:     hidden_group_size_z
      - .offset:         146
        .size:           2
        .value_kind:     hidden_remainder_x
      - .offset:         148
        .size:           2
        .value_kind:     hidden_remainder_y
      - .offset:         150
        .size:           2
        .value_kind:     hidden_remainder_z
      - .offset:         168
        .size:           8
        .value_kind:     hidden_global_offset_x
      - .offset:         176
        .size:           8
        .value_kind:     hidden_global_offset_y
      - .offset:         184
        .size:           8
        .value_kind:     hidden_global_offset_z
      - .offset:         192
        .size:           2
        .value_kind:     hidden_grid_dims
    .group_segment_fixed_size: 0
    .kernarg_segment_align: 8
    .kernarg_segment_size: 384
    .language:       OpenCL C
    .language_version:
      - 2
      - 0
    .max_flat_workgroup_size: 1024
    .name:           _ZL10k_get_rowsILi32ELi2EXadL_ZL15dequantize_q4_1PKvliR15HIP_vector_typeIfLj2EEEEfEvS1_PKiPT2_llS2_IjLj3EEmmmmmmmmm
    .private_segment_fixed_size: 0
    .sgpr_count:     52
    .sgpr_spill_count: 0
    .symbol:         _ZL10k_get_rowsILi32ELi2EXadL_ZL15dequantize_q4_1PKvliR15HIP_vector_typeIfLj2EEEEfEvS1_PKiPT2_llS2_IjLj3EEmmmmmmmmm.kd
    .uniform_work_group_size: 1
    .uses_dynamic_stack: false
    .vgpr_count:     19
    .vgpr_spill_count: 0
    .wavefront_size: 64
  - .args:
      - .actual_access:  read_only
        .address_space:  global
        .offset:         0
        .size:           8
        .value_kind:     global_buffer
      - .actual_access:  read_only
        .address_space:  global
        .offset:         8
        .size:           8
        .value_kind:     global_buffer
      - .actual_access:  write_only
        .address_space:  global
        .offset:         16
        .size:           8
        .value_kind:     global_buffer
      - .offset:         24
        .size:           8
        .value_kind:     by_value
      - .offset:         32
        .size:           8
        .value_kind:     by_value
      - .offset:         40
        .size:           12
        .value_kind:     by_value
      - .offset:         56
        .size:           8
        .value_kind:     by_value
      - .offset:         64
        .size:           8
        .value_kind:     by_value
      - .offset:         72
        .size:           8
        .value_kind:     by_value
      - .offset:         80
        .size:           8
        .value_kind:     by_value
      - .offset:         88
        .size:           8
        .value_kind:     by_value
      - .offset:         96
        .size:           8
        .value_kind:     by_value
      - .offset:         104
        .size:           8
        .value_kind:     by_value
      - .offset:         112
        .size:           8
        .value_kind:     by_value
      - .offset:         120
        .size:           8
        .value_kind:     by_value
      - .offset:         128
        .size:           4
        .value_kind:     hidden_block_count_x
      - .offset:         132
        .size:           4
        .value_kind:     hidden_block_count_y
      - .offset:         136
        .size:           4
        .value_kind:     hidden_block_count_z
      - .offset:         140
        .size:           2
        .value_kind:     hidden_group_size_x
      - .offset:         142
        .size:           2
        .value_kind:     hidden_group_size_y
      - .offset:         144
        .size:           2
        .value_kind:     hidden_group_size_z
      - .offset:         146
        .size:           2
        .value_kind:     hidden_remainder_x
      - .offset:         148
        .size:           2
        .value_kind:     hidden_remainder_y
      - .offset:         150
        .size:           2
        .value_kind:     hidden_remainder_z
      - .offset:         168
        .size:           8
        .value_kind:     hidden_global_offset_x
      - .offset:         176
        .size:           8
        .value_kind:     hidden_global_offset_y
      - .offset:         184
        .size:           8
        .value_kind:     hidden_global_offset_z
      - .offset:         192
        .size:           2
        .value_kind:     hidden_grid_dims
    .group_segment_fixed_size: 0
    .kernarg_segment_align: 8
    .kernarg_segment_size: 384
    .language:       OpenCL C
    .language_version:
      - 2
      - 0
    .max_flat_workgroup_size: 1024
    .name:           _ZL10k_get_rowsILi32ELi2EXadL_ZL15dequantize_q5_0PKvliR15HIP_vector_typeIfLj2EEEEfEvS1_PKiPT2_llS2_IjLj3EEmmmmmmmmm
    .private_segment_fixed_size: 0
    .sgpr_count:     56
    .sgpr_spill_count: 0
    .symbol:         _ZL10k_get_rowsILi32ELi2EXadL_ZL15dequantize_q5_0PKvliR15HIP_vector_typeIfLj2EEEEfEvS1_PKiPT2_llS2_IjLj3EEmmmmmmmmm.kd
    .uniform_work_group_size: 1
    .uses_dynamic_stack: false
    .vgpr_count:     18
    .vgpr_spill_count: 0
    .wavefront_size: 64
  - .args:
      - .actual_access:  read_only
        .address_space:  global
        .offset:         0
        .size:           8
        .value_kind:     global_buffer
      - .actual_access:  read_only
        .address_space:  global
        .offset:         8
        .size:           8
        .value_kind:     global_buffer
      - .actual_access:  write_only
        .address_space:  global
        .offset:         16
        .size:           8
        .value_kind:     global_buffer
      - .offset:         24
        .size:           8
        .value_kind:     by_value
      - .offset:         32
        .size:           8
        .value_kind:     by_value
      - .offset:         40
        .size:           12
        .value_kind:     by_value
      - .offset:         56
        .size:           8
        .value_kind:     by_value
      - .offset:         64
        .size:           8
        .value_kind:     by_value
      - .offset:         72
        .size:           8
        .value_kind:     by_value
      - .offset:         80
        .size:           8
        .value_kind:     by_value
      - .offset:         88
        .size:           8
        .value_kind:     by_value
      - .offset:         96
        .size:           8
        .value_kind:     by_value
      - .offset:         104
        .size:           8
        .value_kind:     by_value
      - .offset:         112
        .size:           8
        .value_kind:     by_value
      - .offset:         120
        .size:           8
        .value_kind:     by_value
      - .offset:         128
        .size:           4
        .value_kind:     hidden_block_count_x
      - .offset:         132
        .size:           4
        .value_kind:     hidden_block_count_y
      - .offset:         136
        .size:           4
        .value_kind:     hidden_block_count_z
      - .offset:         140
        .size:           2
        .value_kind:     hidden_group_size_x
      - .offset:         142
        .size:           2
        .value_kind:     hidden_group_size_y
      - .offset:         144
        .size:           2
        .value_kind:     hidden_group_size_z
      - .offset:         146
        .size:           2
        .value_kind:     hidden_remainder_x
      - .offset:         148
        .size:           2
        .value_kind:     hidden_remainder_y
      - .offset:         150
        .size:           2
        .value_kind:     hidden_remainder_z
      - .offset:         168
        .size:           8
        .value_kind:     hidden_global_offset_x
      - .offset:         176
        .size:           8
        .value_kind:     hidden_global_offset_y
      - .offset:         184
        .size:           8
        .value_kind:     hidden_global_offset_z
      - .offset:         192
        .size:           2
        .value_kind:     hidden_grid_dims
    .group_segment_fixed_size: 0
    .kernarg_segment_align: 8
    .kernarg_segment_size: 384
    .language:       OpenCL C
    .language_version:
      - 2
      - 0
    .max_flat_workgroup_size: 1024
    .name:           _ZL10k_get_rowsILi32ELi2EXadL_ZL15dequantize_q5_1PKvliR15HIP_vector_typeIfLj2EEEEfEvS1_PKiPT2_llS2_IjLj3EEmmmmmmmmm
    .private_segment_fixed_size: 0
    .sgpr_count:     52
    .sgpr_spill_count: 0
    .symbol:         _ZL10k_get_rowsILi32ELi2EXadL_ZL15dequantize_q5_1PKvliR15HIP_vector_typeIfLj2EEEEfEvS1_PKiPT2_llS2_IjLj3EEmmmmmmmmm.kd
    .uniform_work_group_size: 1
    .uses_dynamic_stack: false
    .vgpr_count:     19
    .vgpr_spill_count: 0
    .wavefront_size: 64
  - .args:
      - .actual_access:  read_only
        .address_space:  global
        .offset:         0
        .size:           8
        .value_kind:     global_buffer
      - .actual_access:  read_only
        .address_space:  global
        .offset:         8
        .size:           8
        .value_kind:     global_buffer
      - .actual_access:  write_only
        .address_space:  global
        .offset:         16
        .size:           8
        .value_kind:     global_buffer
      - .offset:         24
        .size:           8
        .value_kind:     by_value
      - .offset:         32
        .size:           8
        .value_kind:     by_value
      - .offset:         40
        .size:           12
        .value_kind:     by_value
      - .offset:         56
        .size:           8
        .value_kind:     by_value
      - .offset:         64
        .size:           8
        .value_kind:     by_value
      - .offset:         72
        .size:           8
        .value_kind:     by_value
      - .offset:         80
        .size:           8
        .value_kind:     by_value
      - .offset:         88
        .size:           8
        .value_kind:     by_value
      - .offset:         96
        .size:           8
        .value_kind:     by_value
      - .offset:         104
        .size:           8
        .value_kind:     by_value
      - .offset:         112
        .size:           8
        .value_kind:     by_value
      - .offset:         120
        .size:           8
        .value_kind:     by_value
      - .offset:         128
        .size:           4
        .value_kind:     hidden_block_count_x
      - .offset:         132
        .size:           4
        .value_kind:     hidden_block_count_y
      - .offset:         136
        .size:           4
        .value_kind:     hidden_block_count_z
      - .offset:         140
        .size:           2
        .value_kind:     hidden_group_size_x
      - .offset:         142
        .size:           2
        .value_kind:     hidden_group_size_y
      - .offset:         144
        .size:           2
        .value_kind:     hidden_group_size_z
      - .offset:         146
        .size:           2
        .value_kind:     hidden_remainder_x
      - .offset:         148
        .size:           2
        .value_kind:     hidden_remainder_y
      - .offset:         150
        .size:           2
        .value_kind:     hidden_remainder_z
      - .offset:         168
        .size:           8
        .value_kind:     hidden_global_offset_x
      - .offset:         176
        .size:           8
        .value_kind:     hidden_global_offset_y
      - .offset:         184
        .size:           8
        .value_kind:     hidden_global_offset_z
      - .offset:         192
        .size:           2
        .value_kind:     hidden_grid_dims
    .group_segment_fixed_size: 0
    .kernarg_segment_align: 8
    .kernarg_segment_size: 384
    .language:       OpenCL C
    .language_version:
      - 2
      - 0
    .max_flat_workgroup_size: 1024
    .name:           _ZL10k_get_rowsILi32ELi1EXadL_ZL15dequantize_q8_0PKvliR15HIP_vector_typeIfLj2EEEEfEvS1_PKiPT2_llS2_IjLj3EEmmmmmmmmm
    .private_segment_fixed_size: 0
    .sgpr_count:     54
    .sgpr_spill_count: 0
    .symbol:         _ZL10k_get_rowsILi32ELi1EXadL_ZL15dequantize_q8_0PKvliR15HIP_vector_typeIfLj2EEEEfEvS1_PKiPT2_llS2_IjLj3EEmmmmmmmmm.kd
    .uniform_work_group_size: 1
    .uses_dynamic_stack: false
    .vgpr_count:     21
    .vgpr_spill_count: 0
    .wavefront_size: 64
  - .args:
      - .address_space:  global
        .offset:         0
        .size:           8
        .value_kind:     global_buffer
      - .address_space:  global
        .offset:         8
        .size:           8
        .value_kind:     global_buffer
      - .address_space:  global
        .offset:         16
        .size:           8
        .value_kind:     global_buffer
      - .offset:         24
        .size:           8
        .value_kind:     by_value
      - .offset:         32
        .size:           8
        .value_kind:     by_value
      - .offset:         40
        .size:           12
        .value_kind:     by_value
      - .offset:         56
        .size:           8
        .value_kind:     by_value
      - .offset:         64
        .size:           8
        .value_kind:     by_value
      - .offset:         72
        .size:           8
        .value_kind:     by_value
      - .offset:         80
        .size:           8
        .value_kind:     by_value
      - .offset:         88
        .size:           8
        .value_kind:     by_value
      - .offset:         96
        .size:           8
        .value_kind:     by_value
      - .offset:         104
        .size:           8
        .value_kind:     by_value
      - .offset:         112
        .size:           8
        .value_kind:     by_value
      - .offset:         120
        .size:           8
        .value_kind:     by_value
      - .offset:         128
        .size:           4
        .value_kind:     hidden_block_count_x
      - .offset:         132
        .size:           4
        .value_kind:     hidden_block_count_y
      - .offset:         136
        .size:           4
        .value_kind:     hidden_block_count_z
      - .offset:         140
        .size:           2
        .value_kind:     hidden_group_size_x
      - .offset:         142
        .size:           2
        .value_kind:     hidden_group_size_y
      - .offset:         144
        .size:           2
        .value_kind:     hidden_group_size_z
      - .offset:         146
        .size:           2
        .value_kind:     hidden_remainder_x
      - .offset:         148
        .size:           2
        .value_kind:     hidden_remainder_y
      - .offset:         150
        .size:           2
        .value_kind:     hidden_remainder_z
      - .offset:         168
        .size:           8
        .value_kind:     hidden_global_offset_x
      - .offset:         176
        .size:           8
        .value_kind:     hidden_global_offset_y
      - .offset:         184
        .size:           8
        .value_kind:     hidden_global_offset_z
      - .offset:         192
        .size:           2
        .value_kind:     hidden_grid_dims
    .group_segment_fixed_size: 0
    .kernarg_segment_align: 8
    .kernarg_segment_size: 384
    .language:       OpenCL C
    .language_version:
      - 2
      - 0
    .max_flat_workgroup_size: 1024
    .name:           _ZL16k_get_rows_floatI6__halfiEvPKT_PKiPT0_ll15HIP_vector_typeIjLj3EEmmmmmmmmm
    .private_segment_fixed_size: 0
    .sgpr_count:     50
    .sgpr_spill_count: 0
    .symbol:         _ZL16k_get_rows_floatI6__halfiEvPKT_PKiPT0_ll15HIP_vector_typeIjLj3EEmmmmmmmmm.kd
    .uniform_work_group_size: 1
    .uses_dynamic_stack: false
    .vgpr_count:     18
    .vgpr_spill_count: 0
    .wavefront_size: 64
  - .args:
      - .address_space:  global
        .offset:         0
        .size:           8
        .value_kind:     global_buffer
      - .address_space:  global
        .offset:         8
        .size:           8
        .value_kind:     global_buffer
      - .address_space:  global
        .offset:         16
        .size:           8
        .value_kind:     global_buffer
      - .offset:         24
        .size:           8
        .value_kind:     by_value
      - .offset:         32
        .size:           8
        .value_kind:     by_value
      - .offset:         40
        .size:           12
        .value_kind:     by_value
      - .offset:         56
        .size:           8
        .value_kind:     by_value
      - .offset:         64
        .size:           8
        .value_kind:     by_value
      - .offset:         72
        .size:           8
        .value_kind:     by_value
      - .offset:         80
        .size:           8
        .value_kind:     by_value
      - .offset:         88
        .size:           8
        .value_kind:     by_value
      - .offset:         96
        .size:           8
        .value_kind:     by_value
      - .offset:         104
        .size:           8
        .value_kind:     by_value
      - .offset:         112
        .size:           8
        .value_kind:     by_value
      - .offset:         120
        .size:           8
        .value_kind:     by_value
      - .offset:         128
        .size:           4
        .value_kind:     hidden_block_count_x
      - .offset:         132
        .size:           4
        .value_kind:     hidden_block_count_y
      - .offset:         136
        .size:           4
        .value_kind:     hidden_block_count_z
      - .offset:         140
        .size:           2
        .value_kind:     hidden_group_size_x
      - .offset:         142
        .size:           2
        .value_kind:     hidden_group_size_y
      - .offset:         144
        .size:           2
        .value_kind:     hidden_group_size_z
      - .offset:         146
        .size:           2
        .value_kind:     hidden_remainder_x
      - .offset:         148
        .size:           2
        .value_kind:     hidden_remainder_y
      - .offset:         150
        .size:           2
        .value_kind:     hidden_remainder_z
      - .offset:         168
        .size:           8
        .value_kind:     hidden_global_offset_x
      - .offset:         176
        .size:           8
        .value_kind:     hidden_global_offset_y
      - .offset:         184
        .size:           8
        .value_kind:     hidden_global_offset_z
      - .offset:         192
        .size:           2
        .value_kind:     hidden_grid_dims
    .group_segment_fixed_size: 0
    .kernarg_segment_align: 8
    .kernarg_segment_size: 384
    .language:       OpenCL C
    .language_version:
      - 2
      - 0
    .max_flat_workgroup_size: 1024
    .name:           _ZL16k_get_rows_floatIfiEvPKT_PKiPT0_ll15HIP_vector_typeIjLj3EEmmmmmmmmm
    .private_segment_fixed_size: 0
    .sgpr_count:     48
    .sgpr_spill_count: 0
    .symbol:         _ZL16k_get_rows_floatIfiEvPKT_PKiPT0_ll15HIP_vector_typeIjLj3EEmmmmmmmmm.kd
    .uniform_work_group_size: 1
    .uses_dynamic_stack: false
    .vgpr_count:     19
    .vgpr_spill_count: 0
    .wavefront_size: 64
  - .args:
      - .address_space:  global
        .offset:         0
        .size:           8
        .value_kind:     global_buffer
      - .address_space:  global
        .offset:         8
        .size:           8
        .value_kind:     global_buffer
      - .address_space:  global
        .offset:         16
        .size:           8
        .value_kind:     global_buffer
      - .offset:         24
        .size:           8
        .value_kind:     by_value
      - .offset:         32
        .size:           8
        .value_kind:     by_value
      - .offset:         40
        .size:           12
        .value_kind:     by_value
      - .offset:         56
        .size:           8
        .value_kind:     by_value
      - .offset:         64
        .size:           8
        .value_kind:     by_value
      - .offset:         72
        .size:           8
        .value_kind:     by_value
      - .offset:         80
        .size:           8
        .value_kind:     by_value
      - .offset:         88
        .size:           8
        .value_kind:     by_value
      - .offset:         96
        .size:           8
        .value_kind:     by_value
      - .offset:         104
        .size:           8
        .value_kind:     by_value
      - .offset:         112
        .size:           8
        .value_kind:     by_value
      - .offset:         120
        .size:           8
        .value_kind:     by_value
      - .offset:         128
        .size:           4
        .value_kind:     hidden_block_count_x
      - .offset:         132
        .size:           4
        .value_kind:     hidden_block_count_y
      - .offset:         136
        .size:           4
        .value_kind:     hidden_block_count_z
      - .offset:         140
        .size:           2
        .value_kind:     hidden_group_size_x
      - .offset:         142
        .size:           2
        .value_kind:     hidden_group_size_y
      - .offset:         144
        .size:           2
        .value_kind:     hidden_group_size_z
      - .offset:         146
        .size:           2
        .value_kind:     hidden_remainder_x
      - .offset:         148
        .size:           2
        .value_kind:     hidden_remainder_y
      - .offset:         150
        .size:           2
        .value_kind:     hidden_remainder_z
      - .offset:         168
        .size:           8
        .value_kind:     hidden_global_offset_x
      - .offset:         176
        .size:           8
        .value_kind:     hidden_global_offset_y
      - .offset:         184
        .size:           8
        .value_kind:     hidden_global_offset_z
      - .offset:         192
        .size:           2
        .value_kind:     hidden_grid_dims
    .group_segment_fixed_size: 0
    .kernarg_segment_align: 8
    .kernarg_segment_size: 384
    .language:       OpenCL C
    .language_version:
      - 2
      - 0
    .max_flat_workgroup_size: 1024
    .name:           _ZL16k_get_rows_floatIiiEvPKT_PKiPT0_ll15HIP_vector_typeIjLj3EEmmmmmmmmm
    .private_segment_fixed_size: 0
    .sgpr_count:     48
    .sgpr_spill_count: 0
    .symbol:         _ZL16k_get_rows_floatIiiEvPKT_PKiPT0_ll15HIP_vector_typeIjLj3EEmmmmmmmmm.kd
    .uniform_work_group_size: 1
    .uses_dynamic_stack: false
    .vgpr_count:     19
    .vgpr_spill_count: 0
    .wavefront_size: 64
  - .args:
      - .address_space:  global
        .offset:         0
        .size:           8
        .value_kind:     global_buffer
      - .address_space:  global
        .offset:         8
        .size:           8
        .value_kind:     global_buffer
      - .address_space:  global
        .offset:         16
        .size:           8
        .value_kind:     global_buffer
      - .offset:         24
        .size:           8
        .value_kind:     by_value
      - .offset:         32
        .size:           8
        .value_kind:     by_value
      - .offset:         40
        .size:           12
        .value_kind:     by_value
      - .offset:         56
        .size:           8
        .value_kind:     by_value
      - .offset:         64
        .size:           8
        .value_kind:     by_value
      - .offset:         72
        .size:           8
        .value_kind:     by_value
      - .offset:         80
        .size:           8
        .value_kind:     by_value
      - .offset:         88
        .size:           8
        .value_kind:     by_value
      - .offset:         96
        .size:           8
        .value_kind:     by_value
      - .offset:         104
        .size:           8
        .value_kind:     by_value
      - .offset:         112
        .size:           8
        .value_kind:     by_value
      - .offset:         120
        .size:           8
        .value_kind:     by_value
      - .offset:         128
        .size:           4
        .value_kind:     hidden_block_count_x
      - .offset:         132
        .size:           4
        .value_kind:     hidden_block_count_y
      - .offset:         136
        .size:           4
        .value_kind:     hidden_block_count_z
      - .offset:         140
        .size:           2
        .value_kind:     hidden_group_size_x
      - .offset:         142
        .size:           2
        .value_kind:     hidden_group_size_y
      - .offset:         144
        .size:           2
        .value_kind:     hidden_group_size_z
      - .offset:         146
        .size:           2
        .value_kind:     hidden_remainder_x
      - .offset:         148
        .size:           2
        .value_kind:     hidden_remainder_y
      - .offset:         150
        .size:           2
        .value_kind:     hidden_remainder_z
      - .offset:         168
        .size:           8
        .value_kind:     hidden_global_offset_x
      - .offset:         176
        .size:           8
        .value_kind:     hidden_global_offset_y
      - .offset:         184
        .size:           8
        .value_kind:     hidden_global_offset_z
      - .offset:         192
        .size:           2
        .value_kind:     hidden_grid_dims
    .group_segment_fixed_size: 0
    .kernarg_segment_align: 8
    .kernarg_segment_size: 384
    .language:       OpenCL C
    .language_version:
      - 2
      - 0
    .max_flat_workgroup_size: 1024
    .name:           _ZL16k_get_rows_floatI14__hip_bfloat16iEvPKT_PKiPT0_ll15HIP_vector_typeIjLj3EEmmmmmmmmm
    .private_segment_fixed_size: 0
    .sgpr_count:     50
    .sgpr_spill_count: 0
    .symbol:         _ZL16k_get_rows_floatI14__hip_bfloat16iEvPKT_PKiPT0_ll15HIP_vector_typeIjLj3EEmmmmmmmmm.kd
    .uniform_work_group_size: 1
    .uses_dynamic_stack: false
    .vgpr_count:     18
    .vgpr_spill_count: 0
    .wavefront_size: 64
  - .args:
      - .actual_access:  read_only
        .address_space:  global
        .offset:         0
        .size:           8
        .value_kind:     global_buffer
      - .actual_access:  read_only
        .address_space:  global
        .offset:         8
        .size:           8
        .value_kind:     global_buffer
      - .actual_access:  write_only
        .address_space:  global
        .offset:         16
        .size:           8
        .value_kind:     global_buffer
      - .offset:         24
        .size:           8
        .value_kind:     by_value
      - .offset:         32
        .size:           8
        .value_kind:     by_value
      - .offset:         40
        .size:           12
        .value_kind:     by_value
      - .offset:         56
        .size:           8
        .value_kind:     by_value
      - .offset:         64
        .size:           8
        .value_kind:     by_value
      - .offset:         72
        .size:           8
        .value_kind:     by_value
      - .offset:         80
        .size:           8
        .value_kind:     by_value
      - .offset:         88
        .size:           8
        .value_kind:     by_value
      - .offset:         96
        .size:           8
        .value_kind:     by_value
      - .offset:         104
        .size:           8
        .value_kind:     by_value
      - .offset:         112
        .size:           8
        .value_kind:     by_value
      - .offset:         120
        .size:           8
        .value_kind:     by_value
      - .offset:         128
        .size:           4
        .value_kind:     hidden_block_count_x
      - .offset:         132
        .size:           4
        .value_kind:     hidden_block_count_y
      - .offset:         136
        .size:           4
        .value_kind:     hidden_block_count_z
      - .offset:         140
        .size:           2
        .value_kind:     hidden_group_size_x
      - .offset:         142
        .size:           2
        .value_kind:     hidden_group_size_y
      - .offset:         144
        .size:           2
        .value_kind:     hidden_group_size_z
      - .offset:         146
        .size:           2
        .value_kind:     hidden_remainder_x
      - .offset:         148
        .size:           2
        .value_kind:     hidden_remainder_y
      - .offset:         150
        .size:           2
        .value_kind:     hidden_remainder_z
      - .offset:         168
        .size:           8
        .value_kind:     hidden_global_offset_x
      - .offset:         176
        .size:           8
        .value_kind:     hidden_global_offset_y
      - .offset:         184
        .size:           8
        .value_kind:     hidden_global_offset_z
      - .offset:         192
        .size:           2
        .value_kind:     hidden_grid_dims
    .group_segment_fixed_size: 0
    .kernarg_segment_align: 8
    .kernarg_segment_size: 384
    .language:       OpenCL C
    .language_version:
      - 2
      - 0
    .max_flat_workgroup_size: 1024
    .name:           _ZL10k_get_rowsILi128ELi1EXadL_ZL15dequantize_q1_0PKvliR15HIP_vector_typeIfLj2EEEEiEvS1_PKiPT2_llS2_IjLj3EEmmmmmmmmm
    .private_segment_fixed_size: 0
    .sgpr_count:     54
    .sgpr_spill_count: 0
    .symbol:         _ZL10k_get_rowsILi128ELi1EXadL_ZL15dequantize_q1_0PKvliR15HIP_vector_typeIfLj2EEEEiEvS1_PKiPT2_llS2_IjLj3EEmmmmmmmmm.kd
    .uniform_work_group_size: 1
    .uses_dynamic_stack: false
    .vgpr_count:     25
    .vgpr_spill_count: 0
    .wavefront_size: 64
  - .args:
      - .actual_access:  read_only
        .address_space:  global
        .offset:         0
        .size:           8
        .value_kind:     global_buffer
      - .actual_access:  read_only
        .address_space:  global
        .offset:         8
        .size:           8
        .value_kind:     global_buffer
      - .actual_access:  write_only
        .address_space:  global
        .offset:         16
        .size:           8
        .value_kind:     global_buffer
      - .offset:         24
        .size:           8
        .value_kind:     by_value
      - .offset:         32
        .size:           8
        .value_kind:     by_value
      - .offset:         40
        .size:           12
        .value_kind:     by_value
      - .offset:         56
        .size:           8
        .value_kind:     by_value
      - .offset:         64
        .size:           8
        .value_kind:     by_value
      - .offset:         72
        .size:           8
        .value_kind:     by_value
      - .offset:         80
        .size:           8
        .value_kind:     by_value
      - .offset:         88
        .size:           8
        .value_kind:     by_value
      - .offset:         96
        .size:           8
        .value_kind:     by_value
      - .offset:         104
        .size:           8
        .value_kind:     by_value
      - .offset:         112
        .size:           8
        .value_kind:     by_value
      - .offset:         120
        .size:           8
        .value_kind:     by_value
      - .offset:         128
        .size:           4
        .value_kind:     hidden_block_count_x
      - .offset:         132
        .size:           4
        .value_kind:     hidden_block_count_y
      - .offset:         136
        .size:           4
        .value_kind:     hidden_block_count_z
      - .offset:         140
        .size:           2
        .value_kind:     hidden_group_size_x
      - .offset:         142
        .size:           2
        .value_kind:     hidden_group_size_y
      - .offset:         144
        .size:           2
        .value_kind:     hidden_group_size_z
      - .offset:         146
        .size:           2
        .value_kind:     hidden_remainder_x
      - .offset:         148
        .size:           2
        .value_kind:     hidden_remainder_y
      - .offset:         150
        .size:           2
        .value_kind:     hidden_remainder_z
      - .offset:         168
        .size:           8
        .value_kind:     hidden_global_offset_x
      - .offset:         176
        .size:           8
        .value_kind:     hidden_global_offset_y
      - .offset:         184
        .size:           8
        .value_kind:     hidden_global_offset_z
      - .offset:         192
        .size:           2
        .value_kind:     hidden_grid_dims
    .group_segment_fixed_size: 0
    .kernarg_segment_align: 8
    .kernarg_segment_size: 384
    .language:       OpenCL C
    .language_version:
      - 2
      - 0
    .max_flat_workgroup_size: 1024
    .name:           _ZL10k_get_rowsILi32ELi2EXadL_ZL15dequantize_q4_0PKvliR15HIP_vector_typeIfLj2EEEEiEvS1_PKiPT2_llS2_IjLj3EEmmmmmmmmm
    .private_segment_fixed_size: 0
    .sgpr_count:     52
    .sgpr_spill_count: 0
    .symbol:         _ZL10k_get_rowsILi32ELi2EXadL_ZL15dequantize_q4_0PKvliR15HIP_vector_typeIfLj2EEEEiEvS1_PKiPT2_llS2_IjLj3EEmmmmmmmmm.kd
    .uniform_work_group_size: 1
    .uses_dynamic_stack: false
    .vgpr_count:     19
    .vgpr_spill_count: 0
    .wavefront_size: 64
  - .args:
      - .actual_access:  read_only
        .address_space:  global
        .offset:         0
        .size:           8
        .value_kind:     global_buffer
      - .actual_access:  read_only
        .address_space:  global
        .offset:         8
        .size:           8
        .value_kind:     global_buffer
      - .actual_access:  write_only
        .address_space:  global
        .offset:         16
        .size:           8
        .value_kind:     global_buffer
      - .offset:         24
        .size:           8
        .value_kind:     by_value
      - .offset:         32
        .size:           8
        .value_kind:     by_value
      - .offset:         40
        .size:           12
        .value_kind:     by_value
      - .offset:         56
        .size:           8
        .value_kind:     by_value
      - .offset:         64
        .size:           8
        .value_kind:     by_value
      - .offset:         72
        .size:           8
        .value_kind:     by_value
      - .offset:         80
        .size:           8
        .value_kind:     by_value
      - .offset:         88
        .size:           8
        .value_kind:     by_value
      - .offset:         96
        .size:           8
        .value_kind:     by_value
      - .offset:         104
        .size:           8
        .value_kind:     by_value
      - .offset:         112
        .size:           8
        .value_kind:     by_value
      - .offset:         120
        .size:           8
        .value_kind:     by_value
      - .offset:         128
        .size:           4
        .value_kind:     hidden_block_count_x
      - .offset:         132
        .size:           4
        .value_kind:     hidden_block_count_y
      - .offset:         136
        .size:           4
        .value_kind:     hidden_block_count_z
      - .offset:         140
        .size:           2
        .value_kind:     hidden_group_size_x
      - .offset:         142
        .size:           2
        .value_kind:     hidden_group_size_y
      - .offset:         144
        .size:           2
        .value_kind:     hidden_group_size_z
      - .offset:         146
        .size:           2
        .value_kind:     hidden_remainder_x
      - .offset:         148
        .size:           2
        .value_kind:     hidden_remainder_y
      - .offset:         150
        .size:           2
        .value_kind:     hidden_remainder_z
      - .offset:         168
        .size:           8
        .value_kind:     hidden_global_offset_x
      - .offset:         176
        .size:           8
        .value_kind:     hidden_global_offset_y
      - .offset:         184
        .size:           8
        .value_kind:     hidden_global_offset_z
      - .offset:         192
        .size:           2
        .value_kind:     hidden_grid_dims
    .group_segment_fixed_size: 0
    .kernarg_segment_align: 8
    .kernarg_segment_size: 384
    .language:       OpenCL C
    .language_version:
      - 2
      - 0
    .max_flat_workgroup_size: 1024
    .name:           _ZL10k_get_rowsILi32ELi2EXadL_ZL15dequantize_q4_1PKvliR15HIP_vector_typeIfLj2EEEEiEvS1_PKiPT2_llS2_IjLj3EEmmmmmmmmm
    .private_segment_fixed_size: 0
    .sgpr_count:     52
    .sgpr_spill_count: 0
    .symbol:         _ZL10k_get_rowsILi32ELi2EXadL_ZL15dequantize_q4_1PKvliR15HIP_vector_typeIfLj2EEEEiEvS1_PKiPT2_llS2_IjLj3EEmmmmmmmmm.kd
    .uniform_work_group_size: 1
    .uses_dynamic_stack: false
    .vgpr_count:     19
    .vgpr_spill_count: 0
    .wavefront_size: 64
  - .args:
      - .actual_access:  read_only
        .address_space:  global
        .offset:         0
        .size:           8
        .value_kind:     global_buffer
      - .actual_access:  read_only
        .address_space:  global
        .offset:         8
        .size:           8
        .value_kind:     global_buffer
      - .actual_access:  write_only
        .address_space:  global
        .offset:         16
        .size:           8
        .value_kind:     global_buffer
      - .offset:         24
        .size:           8
        .value_kind:     by_value
      - .offset:         32
        .size:           8
        .value_kind:     by_value
      - .offset:         40
        .size:           12
        .value_kind:     by_value
      - .offset:         56
        .size:           8
        .value_kind:     by_value
      - .offset:         64
        .size:           8
        .value_kind:     by_value
      - .offset:         72
        .size:           8
        .value_kind:     by_value
      - .offset:         80
        .size:           8
        .value_kind:     by_value
      - .offset:         88
        .size:           8
        .value_kind:     by_value
      - .offset:         96
        .size:           8
        .value_kind:     by_value
      - .offset:         104
        .size:           8
        .value_kind:     by_value
      - .offset:         112
        .size:           8
        .value_kind:     by_value
      - .offset:         120
        .size:           8
        .value_kind:     by_value
      - .offset:         128
        .size:           4
        .value_kind:     hidden_block_count_x
      - .offset:         132
        .size:           4
        .value_kind:     hidden_block_count_y
      - .offset:         136
        .size:           4
        .value_kind:     hidden_block_count_z
      - .offset:         140
        .size:           2
        .value_kind:     hidden_group_size_x
      - .offset:         142
        .size:           2
        .value_kind:     hidden_group_size_y
      - .offset:         144
        .size:           2
        .value_kind:     hidden_group_size_z
      - .offset:         146
        .size:           2
        .value_kind:     hidden_remainder_x
      - .offset:         148
        .size:           2
        .value_kind:     hidden_remainder_y
      - .offset:         150
        .size:           2
        .value_kind:     hidden_remainder_z
      - .offset:         168
        .size:           8
        .value_kind:     hidden_global_offset_x
      - .offset:         176
        .size:           8
        .value_kind:     hidden_global_offset_y
      - .offset:         184
        .size:           8
        .value_kind:     hidden_global_offset_z
      - .offset:         192
        .size:           2
        .value_kind:     hidden_grid_dims
    .group_segment_fixed_size: 0
    .kernarg_segment_align: 8
    .kernarg_segment_size: 384
    .language:       OpenCL C
    .language_version:
      - 2
      - 0
    .max_flat_workgroup_size: 1024
    .name:           _ZL10k_get_rowsILi32ELi2EXadL_ZL15dequantize_q5_0PKvliR15HIP_vector_typeIfLj2EEEEiEvS1_PKiPT2_llS2_IjLj3EEmmmmmmmmm
    .private_segment_fixed_size: 0
    .sgpr_count:     56
    .sgpr_spill_count: 0
    .symbol:         _ZL10k_get_rowsILi32ELi2EXadL_ZL15dequantize_q5_0PKvliR15HIP_vector_typeIfLj2EEEEiEvS1_PKiPT2_llS2_IjLj3EEmmmmmmmmm.kd
    .uniform_work_group_size: 1
    .uses_dynamic_stack: false
    .vgpr_count:     18
    .vgpr_spill_count: 0
    .wavefront_size: 64
  - .args:
      - .actual_access:  read_only
        .address_space:  global
        .offset:         0
        .size:           8
        .value_kind:     global_buffer
      - .actual_access:  read_only
        .address_space:  global
        .offset:         8
        .size:           8
        .value_kind:     global_buffer
      - .actual_access:  write_only
        .address_space:  global
        .offset:         16
        .size:           8
        .value_kind:     global_buffer
      - .offset:         24
        .size:           8
        .value_kind:     by_value
      - .offset:         32
        .size:           8
        .value_kind:     by_value
      - .offset:         40
        .size:           12
        .value_kind:     by_value
      - .offset:         56
        .size:           8
        .value_kind:     by_value
      - .offset:         64
        .size:           8
        .value_kind:     by_value
      - .offset:         72
        .size:           8
        .value_kind:     by_value
      - .offset:         80
        .size:           8
        .value_kind:     by_value
      - .offset:         88
        .size:           8
        .value_kind:     by_value
      - .offset:         96
        .size:           8
        .value_kind:     by_value
      - .offset:         104
        .size:           8
        .value_kind:     by_value
      - .offset:         112
        .size:           8
        .value_kind:     by_value
      - .offset:         120
        .size:           8
        .value_kind:     by_value
      - .offset:         128
        .size:           4
        .value_kind:     hidden_block_count_x
      - .offset:         132
        .size:           4
        .value_kind:     hidden_block_count_y
      - .offset:         136
        .size:           4
        .value_kind:     hidden_block_count_z
      - .offset:         140
        .size:           2
        .value_kind:     hidden_group_size_x
      - .offset:         142
        .size:           2
        .value_kind:     hidden_group_size_y
      - .offset:         144
        .size:           2
        .value_kind:     hidden_group_size_z
      - .offset:         146
        .size:           2
        .value_kind:     hidden_remainder_x
      - .offset:         148
        .size:           2
        .value_kind:     hidden_remainder_y
      - .offset:         150
        .size:           2
        .value_kind:     hidden_remainder_z
      - .offset:         168
        .size:           8
        .value_kind:     hidden_global_offset_x
      - .offset:         176
        .size:           8
        .value_kind:     hidden_global_offset_y
      - .offset:         184
        .size:           8
        .value_kind:     hidden_global_offset_z
      - .offset:         192
        .size:           2
        .value_kind:     hidden_grid_dims
    .group_segment_fixed_size: 0
    .kernarg_segment_align: 8
    .kernarg_segment_size: 384
    .language:       OpenCL C
    .language_version:
      - 2
      - 0
    .max_flat_workgroup_size: 1024
    .name:           _ZL10k_get_rowsILi32ELi2EXadL_ZL15dequantize_q5_1PKvliR15HIP_vector_typeIfLj2EEEEiEvS1_PKiPT2_llS2_IjLj3EEmmmmmmmmm
    .private_segment_fixed_size: 0
    .sgpr_count:     52
    .sgpr_spill_count: 0
    .symbol:         _ZL10k_get_rowsILi32ELi2EXadL_ZL15dequantize_q5_1PKvliR15HIP_vector_typeIfLj2EEEEiEvS1_PKiPT2_llS2_IjLj3EEmmmmmmmmm.kd
    .uniform_work_group_size: 1
    .uses_dynamic_stack: false
    .vgpr_count:     19
    .vgpr_spill_count: 0
    .wavefront_size: 64
  - .args:
      - .actual_access:  read_only
        .address_space:  global
        .offset:         0
        .size:           8
        .value_kind:     global_buffer
      - .actual_access:  read_only
        .address_space:  global
        .offset:         8
        .size:           8
        .value_kind:     global_buffer
      - .actual_access:  write_only
        .address_space:  global
        .offset:         16
        .size:           8
        .value_kind:     global_buffer
      - .offset:         24
        .size:           8
        .value_kind:     by_value
      - .offset:         32
        .size:           8
        .value_kind:     by_value
      - .offset:         40
        .size:           12
        .value_kind:     by_value
      - .offset:         56
        .size:           8
        .value_kind:     by_value
      - .offset:         64
        .size:           8
        .value_kind:     by_value
      - .offset:         72
        .size:           8
        .value_kind:     by_value
      - .offset:         80
        .size:           8
        .value_kind:     by_value
      - .offset:         88
        .size:           8
        .value_kind:     by_value
      - .offset:         96
        .size:           8
        .value_kind:     by_value
      - .offset:         104
        .size:           8
        .value_kind:     by_value
      - .offset:         112
        .size:           8
        .value_kind:     by_value
      - .offset:         120
        .size:           8
        .value_kind:     by_value
      - .offset:         128
        .size:           4
        .value_kind:     hidden_block_count_x
      - .offset:         132
        .size:           4
        .value_kind:     hidden_block_count_y
      - .offset:         136
        .size:           4
        .value_kind:     hidden_block_count_z
      - .offset:         140
        .size:           2
        .value_kind:     hidden_group_size_x
      - .offset:         142
        .size:           2
        .value_kind:     hidden_group_size_y
      - .offset:         144
        .size:           2
        .value_kind:     hidden_group_size_z
      - .offset:         146
        .size:           2
        .value_kind:     hidden_remainder_x
      - .offset:         148
        .size:           2
        .value_kind:     hidden_remainder_y
      - .offset:         150
        .size:           2
        .value_kind:     hidden_remainder_z
      - .offset:         168
        .size:           8
        .value_kind:     hidden_global_offset_x
      - .offset:         176
        .size:           8
        .value_kind:     hidden_global_offset_y
      - .offset:         184
        .size:           8
        .value_kind:     hidden_global_offset_z
      - .offset:         192
        .size:           2
        .value_kind:     hidden_grid_dims
    .group_segment_fixed_size: 0
    .kernarg_segment_align: 8
    .kernarg_segment_size: 384
    .language:       OpenCL C
    .language_version:
      - 2
      - 0
    .max_flat_workgroup_size: 1024
    .name:           _ZL10k_get_rowsILi32ELi1EXadL_ZL15dequantize_q8_0PKvliR15HIP_vector_typeIfLj2EEEEiEvS1_PKiPT2_llS2_IjLj3EEmmmmmmmmm
    .private_segment_fixed_size: 0
    .sgpr_count:     54
    .sgpr_spill_count: 0
    .symbol:         _ZL10k_get_rowsILi32ELi1EXadL_ZL15dequantize_q8_0PKvliR15HIP_vector_typeIfLj2EEEEiEvS1_PKiPT2_llS2_IjLj3EEmmmmmmmmm.kd
    .uniform_work_group_size: 1
    .uses_dynamic_stack: false
    .vgpr_count:     21
    .vgpr_spill_count: 0
    .wavefront_size: 64
  - .args:
      - .address_space:  global
        .offset:         0
        .size:           8
        .value_kind:     global_buffer
      - .address_space:  global
        .offset:         8
        .size:           8
        .value_kind:     global_buffer
      - .address_space:  global
        .offset:         16
        .size:           8
        .value_kind:     global_buffer
      - .offset:         24
        .size:           8
        .value_kind:     by_value
      - .offset:         32
        .size:           8
        .value_kind:     by_value
      - .offset:         40
        .size:           12
        .value_kind:     by_value
      - .offset:         56
        .size:           8
        .value_kind:     by_value
      - .offset:         64
        .size:           8
        .value_kind:     by_value
      - .offset:         72
        .size:           8
        .value_kind:     by_value
      - .offset:         80
        .size:           8
        .value_kind:     by_value
      - .offset:         88
        .size:           8
        .value_kind:     by_value
      - .offset:         96
        .size:           8
        .value_kind:     by_value
      - .offset:         104
        .size:           8
        .value_kind:     by_value
      - .offset:         112
        .size:           8
        .value_kind:     by_value
      - .offset:         120
        .size:           8
        .value_kind:     by_value
      - .offset:         128
        .size:           4
        .value_kind:     hidden_block_count_x
      - .offset:         132
        .size:           4
        .value_kind:     hidden_block_count_y
      - .offset:         136
        .size:           4
        .value_kind:     hidden_block_count_z
      - .offset:         140
        .size:           2
        .value_kind:     hidden_group_size_x
      - .offset:         142
        .size:           2
        .value_kind:     hidden_group_size_y
      - .offset:         144
        .size:           2
        .value_kind:     hidden_group_size_z
      - .offset:         146
        .size:           2
        .value_kind:     hidden_remainder_x
      - .offset:         148
        .size:           2
        .value_kind:     hidden_remainder_y
      - .offset:         150
        .size:           2
        .value_kind:     hidden_remainder_z
      - .offset:         168
        .size:           8
        .value_kind:     hidden_global_offset_x
      - .offset:         176
        .size:           8
        .value_kind:     hidden_global_offset_y
      - .offset:         184
        .size:           8
        .value_kind:     hidden_global_offset_z
      - .offset:         192
        .size:           2
        .value_kind:     hidden_grid_dims
    .group_segment_fixed_size: 0
    .kernarg_segment_align: 8
    .kernarg_segment_size: 384
    .language:       OpenCL C
    .language_version:
      - 2
      - 0
    .max_flat_workgroup_size: 1024
    .name:           _ZL16k_get_rows_floatI6__halfS0_EvPKT_PKiPT0_ll15HIP_vector_typeIjLj3EEmmmmmmmmm
    .private_segment_fixed_size: 0
    .sgpr_count:     48
    .sgpr_spill_count: 0
    .symbol:         _ZL16k_get_rows_floatI6__halfS0_EvPKT_PKiPT0_ll15HIP_vector_typeIjLj3EEmmmmmmmmm.kd
    .uniform_work_group_size: 1
    .uses_dynamic_stack: false
    .vgpr_count:     19
    .vgpr_spill_count: 0
    .wavefront_size: 64
  - .args:
      - .address_space:  global
        .offset:         0
        .size:           8
        .value_kind:     global_buffer
      - .address_space:  global
        .offset:         8
        .size:           8
        .value_kind:     global_buffer
      - .address_space:  global
        .offset:         16
        .size:           8
        .value_kind:     global_buffer
      - .offset:         24
        .size:           8
        .value_kind:     by_value
      - .offset:         32
        .size:           8
        .value_kind:     by_value
      - .offset:         40
        .size:           12
        .value_kind:     by_value
      - .offset:         56
        .size:           8
        .value_kind:     by_value
      - .offset:         64
        .size:           8
        .value_kind:     by_value
      - .offset:         72
        .size:           8
        .value_kind:     by_value
      - .offset:         80
        .size:           8
        .value_kind:     by_value
      - .offset:         88
        .size:           8
        .value_kind:     by_value
      - .offset:         96
        .size:           8
        .value_kind:     by_value
      - .offset:         104
        .size:           8
        .value_kind:     by_value
      - .offset:         112
        .size:           8
        .value_kind:     by_value
      - .offset:         120
        .size:           8
        .value_kind:     by_value
      - .offset:         128
        .size:           4
        .value_kind:     hidden_block_count_x
      - .offset:         132
        .size:           4
        .value_kind:     hidden_block_count_y
      - .offset:         136
        .size:           4
        .value_kind:     hidden_block_count_z
      - .offset:         140
        .size:           2
        .value_kind:     hidden_group_size_x
      - .offset:         142
        .size:           2
        .value_kind:     hidden_group_size_y
      - .offset:         144
        .size:           2
        .value_kind:     hidden_group_size_z
      - .offset:         146
        .size:           2
        .value_kind:     hidden_remainder_x
      - .offset:         148
        .size:           2
        .value_kind:     hidden_remainder_y
      - .offset:         150
        .size:           2
        .value_kind:     hidden_remainder_z
      - .offset:         168
        .size:           8
        .value_kind:     hidden_global_offset_x
      - .offset:         176
        .size:           8
        .value_kind:     hidden_global_offset_y
      - .offset:         184
        .size:           8
        .value_kind:     hidden_global_offset_z
      - .offset:         192
        .size:           2
        .value_kind:     hidden_grid_dims
    .group_segment_fixed_size: 0
    .kernarg_segment_align: 8
    .kernarg_segment_size: 384
    .language:       OpenCL C
    .language_version:
      - 2
      - 0
    .max_flat_workgroup_size: 1024
    .name:           _ZL16k_get_rows_floatIf6__halfEvPKT_PKiPT0_ll15HIP_vector_typeIjLj3EEmmmmmmmmm
    .private_segment_fixed_size: 0
    .sgpr_count:     50
    .sgpr_spill_count: 0
    .symbol:         _ZL16k_get_rows_floatIf6__halfEvPKT_PKiPT0_ll15HIP_vector_typeIjLj3EEmmmmmmmmm.kd
    .uniform_work_group_size: 1
    .uses_dynamic_stack: false
    .vgpr_count:     18
    .vgpr_spill_count: 0
    .wavefront_size: 64
  - .args:
      - .address_space:  global
        .offset:         0
        .size:           8
        .value_kind:     global_buffer
      - .address_space:  global
        .offset:         8
        .size:           8
        .value_kind:     global_buffer
      - .address_space:  global
        .offset:         16
        .size:           8
        .value_kind:     global_buffer
      - .offset:         24
        .size:           8
        .value_kind:     by_value
      - .offset:         32
        .size:           8
        .value_kind:     by_value
      - .offset:         40
        .size:           12
        .value_kind:     by_value
      - .offset:         56
        .size:           8
        .value_kind:     by_value
      - .offset:         64
        .size:           8
        .value_kind:     by_value
      - .offset:         72
        .size:           8
        .value_kind:     by_value
      - .offset:         80
        .size:           8
        .value_kind:     by_value
      - .offset:         88
        .size:           8
        .value_kind:     by_value
      - .offset:         96
        .size:           8
        .value_kind:     by_value
      - .offset:         104
        .size:           8
        .value_kind:     by_value
      - .offset:         112
        .size:           8
        .value_kind:     by_value
      - .offset:         120
        .size:           8
        .value_kind:     by_value
      - .offset:         128
        .size:           4
        .value_kind:     hidden_block_count_x
      - .offset:         132
        .size:           4
        .value_kind:     hidden_block_count_y
      - .offset:         136
        .size:           4
        .value_kind:     hidden_block_count_z
      - .offset:         140
        .size:           2
        .value_kind:     hidden_group_size_x
      - .offset:         142
        .size:           2
        .value_kind:     hidden_group_size_y
      - .offset:         144
        .size:           2
        .value_kind:     hidden_group_size_z
      - .offset:         146
        .size:           2
        .value_kind:     hidden_remainder_x
      - .offset:         148
        .size:           2
        .value_kind:     hidden_remainder_y
      - .offset:         150
        .size:           2
        .value_kind:     hidden_remainder_z
      - .offset:         168
        .size:           8
        .value_kind:     hidden_global_offset_x
      - .offset:         176
        .size:           8
        .value_kind:     hidden_global_offset_y
      - .offset:         184
        .size:           8
        .value_kind:     hidden_global_offset_z
      - .offset:         192
        .size:           2
        .value_kind:     hidden_grid_dims
    .group_segment_fixed_size: 0
    .kernarg_segment_align: 8
    .kernarg_segment_size: 384
    .language:       OpenCL C
    .language_version:
      - 2
      - 0
    .max_flat_workgroup_size: 1024
    .name:           _ZL16k_get_rows_floatIi6__halfEvPKT_PKiPT0_ll15HIP_vector_typeIjLj3EEmmmmmmmmm
    .private_segment_fixed_size: 0
    .sgpr_count:     50
    .sgpr_spill_count: 0
    .symbol:         _ZL16k_get_rows_floatIi6__halfEvPKT_PKiPT0_ll15HIP_vector_typeIjLj3EEmmmmmmmmm.kd
    .uniform_work_group_size: 1
    .uses_dynamic_stack: false
    .vgpr_count:     18
    .vgpr_spill_count: 0
    .wavefront_size: 64
  - .args:
      - .address_space:  global
        .offset:         0
        .size:           8
        .value_kind:     global_buffer
      - .address_space:  global
        .offset:         8
        .size:           8
        .value_kind:     global_buffer
      - .address_space:  global
        .offset:         16
        .size:           8
        .value_kind:     global_buffer
      - .offset:         24
        .size:           8
        .value_kind:     by_value
      - .offset:         32
        .size:           8
        .value_kind:     by_value
      - .offset:         40
        .size:           12
        .value_kind:     by_value
      - .offset:         56
        .size:           8
        .value_kind:     by_value
      - .offset:         64
        .size:           8
        .value_kind:     by_value
      - .offset:         72
        .size:           8
        .value_kind:     by_value
      - .offset:         80
        .size:           8
        .value_kind:     by_value
      - .offset:         88
        .size:           8
        .value_kind:     by_value
      - .offset:         96
        .size:           8
        .value_kind:     by_value
      - .offset:         104
        .size:           8
        .value_kind:     by_value
      - .offset:         112
        .size:           8
        .value_kind:     by_value
      - .offset:         120
        .size:           8
        .value_kind:     by_value
      - .offset:         128
        .size:           4
        .value_kind:     hidden_block_count_x
      - .offset:         132
        .size:           4
        .value_kind:     hidden_block_count_y
      - .offset:         136
        .size:           4
        .value_kind:     hidden_block_count_z
      - .offset:         140
        .size:           2
        .value_kind:     hidden_group_size_x
      - .offset:         142
        .size:           2
        .value_kind:     hidden_group_size_y
      - .offset:         144
        .size:           2
        .value_kind:     hidden_group_size_z
      - .offset:         146
        .size:           2
        .value_kind:     hidden_remainder_x
      - .offset:         148
        .size:           2
        .value_kind:     hidden_remainder_y
      - .offset:         150
        .size:           2
        .value_kind:     hidden_remainder_z
      - .offset:         168
        .size:           8
        .value_kind:     hidden_global_offset_x
      - .offset:         176
        .size:           8
        .value_kind:     hidden_global_offset_y
      - .offset:         184
        .size:           8
        .value_kind:     hidden_global_offset_z
      - .offset:         192
        .size:           2
        .value_kind:     hidden_grid_dims
    .group_segment_fixed_size: 0
    .kernarg_segment_align: 8
    .kernarg_segment_size: 384
    .language:       OpenCL C
    .language_version:
      - 2
      - 0
    .max_flat_workgroup_size: 1024
    .name:           _ZL16k_get_rows_floatI14__hip_bfloat166__halfEvPKT_PKiPT0_ll15HIP_vector_typeIjLj3EEmmmmmmmmm
    .private_segment_fixed_size: 0
    .sgpr_count:     48
    .sgpr_spill_count: 0
    .symbol:         _ZL16k_get_rows_floatI14__hip_bfloat166__halfEvPKT_PKiPT0_ll15HIP_vector_typeIjLj3EEmmmmmmmmm.kd
    .uniform_work_group_size: 1
    .uses_dynamic_stack: false
    .vgpr_count:     19
    .vgpr_spill_count: 0
    .wavefront_size: 64
  - .args:
      - .actual_access:  read_only
        .address_space:  global
        .offset:         0
        .size:           8
        .value_kind:     global_buffer
      - .actual_access:  read_only
        .address_space:  global
        .offset:         8
        .size:           8
        .value_kind:     global_buffer
      - .actual_access:  write_only
        .address_space:  global
        .offset:         16
        .size:           8
        .value_kind:     global_buffer
      - .offset:         24
        .size:           8
        .value_kind:     by_value
      - .offset:         32
        .size:           8
        .value_kind:     by_value
      - .offset:         40
        .size:           12
        .value_kind:     by_value
      - .offset:         56
        .size:           8
        .value_kind:     by_value
      - .offset:         64
        .size:           8
        .value_kind:     by_value
      - .offset:         72
        .size:           8
        .value_kind:     by_value
      - .offset:         80
        .size:           8
        .value_kind:     by_value
      - .offset:         88
        .size:           8
        .value_kind:     by_value
      - .offset:         96
        .size:           8
        .value_kind:     by_value
      - .offset:         104
        .size:           8
        .value_kind:     by_value
      - .offset:         112
        .size:           8
        .value_kind:     by_value
      - .offset:         120
        .size:           8
        .value_kind:     by_value
      - .offset:         128
        .size:           4
        .value_kind:     hidden_block_count_x
      - .offset:         132
        .size:           4
        .value_kind:     hidden_block_count_y
      - .offset:         136
        .size:           4
        .value_kind:     hidden_block_count_z
      - .offset:         140
        .size:           2
        .value_kind:     hidden_group_size_x
      - .offset:         142
        .size:           2
        .value_kind:     hidden_group_size_y
      - .offset:         144
        .size:           2
        .value_kind:     hidden_group_size_z
      - .offset:         146
        .size:           2
        .value_kind:     hidden_remainder_x
      - .offset:         148
        .size:           2
        .value_kind:     hidden_remainder_y
      - .offset:         150
        .size:           2
        .value_kind:     hidden_remainder_z
      - .offset:         168
        .size:           8
        .value_kind:     hidden_global_offset_x
      - .offset:         176
        .size:           8
        .value_kind:     hidden_global_offset_y
      - .offset:         184
        .size:           8
        .value_kind:     hidden_global_offset_z
      - .offset:         192
        .size:           2
        .value_kind:     hidden_grid_dims
    .group_segment_fixed_size: 0
    .kernarg_segment_align: 8
    .kernarg_segment_size: 384
    .language:       OpenCL C
    .language_version:
      - 2
      - 0
    .max_flat_workgroup_size: 1024
    .name:           _ZL10k_get_rowsILi128ELi1EXadL_ZL15dequantize_q1_0PKvliR15HIP_vector_typeIfLj2EEEE6__halfEvS1_PKiPT2_llS2_IjLj3EEmmmmmmmmm
    .private_segment_fixed_size: 0
    .sgpr_count:     54
    .sgpr_spill_count: 0
    .symbol:         _ZL10k_get_rowsILi128ELi1EXadL_ZL15dequantize_q1_0PKvliR15HIP_vector_typeIfLj2EEEE6__halfEvS1_PKiPT2_llS2_IjLj3EEmmmmmmmmm.kd
    .uniform_work_group_size: 1
    .uses_dynamic_stack: false
    .vgpr_count:     25
    .vgpr_spill_count: 0
    .wavefront_size: 64
  - .args:
      - .actual_access:  read_only
        .address_space:  global
        .offset:         0
        .size:           8
        .value_kind:     global_buffer
      - .actual_access:  read_only
        .address_space:  global
        .offset:         8
        .size:           8
        .value_kind:     global_buffer
      - .actual_access:  write_only
        .address_space:  global
        .offset:         16
        .size:           8
        .value_kind:     global_buffer
      - .offset:         24
        .size:           8
        .value_kind:     by_value
      - .offset:         32
        .size:           8
        .value_kind:     by_value
      - .offset:         40
        .size:           12
        .value_kind:     by_value
      - .offset:         56
        .size:           8
        .value_kind:     by_value
      - .offset:         64
        .size:           8
        .value_kind:     by_value
      - .offset:         72
        .size:           8
        .value_kind:     by_value
      - .offset:         80
        .size:           8
        .value_kind:     by_value
      - .offset:         88
        .size:           8
        .value_kind:     by_value
      - .offset:         96
        .size:           8
        .value_kind:     by_value
      - .offset:         104
        .size:           8
        .value_kind:     by_value
      - .offset:         112
        .size:           8
        .value_kind:     by_value
      - .offset:         120
        .size:           8
        .value_kind:     by_value
      - .offset:         128
        .size:           4
        .value_kind:     hidden_block_count_x
      - .offset:         132
        .size:           4
        .value_kind:     hidden_block_count_y
      - .offset:         136
        .size:           4
        .value_kind:     hidden_block_count_z
      - .offset:         140
        .size:           2
        .value_kind:     hidden_group_size_x
      - .offset:         142
        .size:           2
        .value_kind:     hidden_group_size_y
      - .offset:         144
        .size:           2
        .value_kind:     hidden_group_size_z
      - .offset:         146
        .size:           2
        .value_kind:     hidden_remainder_x
      - .offset:         148
        .size:           2
        .value_kind:     hidden_remainder_y
      - .offset:         150
        .size:           2
        .value_kind:     hidden_remainder_z
      - .offset:         168
        .size:           8
        .value_kind:     hidden_global_offset_x
      - .offset:         176
        .size:           8
        .value_kind:     hidden_global_offset_y
      - .offset:         184
        .size:           8
        .value_kind:     hidden_global_offset_z
      - .offset:         192
        .size:           2
        .value_kind:     hidden_grid_dims
    .group_segment_fixed_size: 0
    .kernarg_segment_align: 8
    .kernarg_segment_size: 384
    .language:       OpenCL C
    .language_version:
      - 2
      - 0
    .max_flat_workgroup_size: 1024
    .name:           _ZL10k_get_rowsILi32ELi2EXadL_ZL15dequantize_q4_0PKvliR15HIP_vector_typeIfLj2EEEE6__halfEvS1_PKiPT2_llS2_IjLj3EEmmmmmmmmm
    .private_segment_fixed_size: 0
    .sgpr_count:     52
    .sgpr_spill_count: 0
    .symbol:         _ZL10k_get_rowsILi32ELi2EXadL_ZL15dequantize_q4_0PKvliR15HIP_vector_typeIfLj2EEEE6__halfEvS1_PKiPT2_llS2_IjLj3EEmmmmmmmmm.kd
    .uniform_work_group_size: 1
    .uses_dynamic_stack: false
    .vgpr_count:     19
    .vgpr_spill_count: 0
    .wavefront_size: 64
  - .args:
      - .actual_access:  read_only
        .address_space:  global
        .offset:         0
        .size:           8
        .value_kind:     global_buffer
      - .actual_access:  read_only
        .address_space:  global
        .offset:         8
        .size:           8
        .value_kind:     global_buffer
      - .actual_access:  write_only
        .address_space:  global
        .offset:         16
        .size:           8
        .value_kind:     global_buffer
      - .offset:         24
        .size:           8
        .value_kind:     by_value
      - .offset:         32
        .size:           8
        .value_kind:     by_value
      - .offset:         40
        .size:           12
        .value_kind:     by_value
      - .offset:         56
        .size:           8
        .value_kind:     by_value
      - .offset:         64
        .size:           8
        .value_kind:     by_value
      - .offset:         72
        .size:           8
        .value_kind:     by_value
      - .offset:         80
        .size:           8
        .value_kind:     by_value
      - .offset:         88
        .size:           8
        .value_kind:     by_value
      - .offset:         96
        .size:           8
        .value_kind:     by_value
      - .offset:         104
        .size:           8
        .value_kind:     by_value
      - .offset:         112
        .size:           8
        .value_kind:     by_value
      - .offset:         120
        .size:           8
        .value_kind:     by_value
      - .offset:         128
        .size:           4
        .value_kind:     hidden_block_count_x
      - .offset:         132
        .size:           4
        .value_kind:     hidden_block_count_y
      - .offset:         136
        .size:           4
        .value_kind:     hidden_block_count_z
      - .offset:         140
        .size:           2
        .value_kind:     hidden_group_size_x
      - .offset:         142
        .size:           2
        .value_kind:     hidden_group_size_y
      - .offset:         144
        .size:           2
        .value_kind:     hidden_group_size_z
      - .offset:         146
        .size:           2
        .value_kind:     hidden_remainder_x
      - .offset:         148
        .size:           2
        .value_kind:     hidden_remainder_y
      - .offset:         150
        .size:           2
        .value_kind:     hidden_remainder_z
      - .offset:         168
        .size:           8
        .value_kind:     hidden_global_offset_x
      - .offset:         176
        .size:           8
        .value_kind:     hidden_global_offset_y
      - .offset:         184
        .size:           8
        .value_kind:     hidden_global_offset_z
      - .offset:         192
        .size:           2
        .value_kind:     hidden_grid_dims
    .group_segment_fixed_size: 0
    .kernarg_segment_align: 8
    .kernarg_segment_size: 384
    .language:       OpenCL C
    .language_version:
      - 2
      - 0
    .max_flat_workgroup_size: 1024
    .name:           _ZL10k_get_rowsILi32ELi2EXadL_ZL15dequantize_q4_1PKvliR15HIP_vector_typeIfLj2EEEE6__halfEvS1_PKiPT2_llS2_IjLj3EEmmmmmmmmm
    .private_segment_fixed_size: 0
    .sgpr_count:     52
    .sgpr_spill_count: 0
    .symbol:         _ZL10k_get_rowsILi32ELi2EXadL_ZL15dequantize_q4_1PKvliR15HIP_vector_typeIfLj2EEEE6__halfEvS1_PKiPT2_llS2_IjLj3EEmmmmmmmmm.kd
    .uniform_work_group_size: 1
    .uses_dynamic_stack: false
    .vgpr_count:     19
    .vgpr_spill_count: 0
    .wavefront_size: 64
  - .args:
      - .actual_access:  read_only
        .address_space:  global
        .offset:         0
        .size:           8
        .value_kind:     global_buffer
      - .actual_access:  read_only
        .address_space:  global
        .offset:         8
        .size:           8
        .value_kind:     global_buffer
      - .actual_access:  write_only
        .address_space:  global
        .offset:         16
        .size:           8
        .value_kind:     global_buffer
      - .offset:         24
        .size:           8
        .value_kind:     by_value
      - .offset:         32
        .size:           8
        .value_kind:     by_value
      - .offset:         40
        .size:           12
        .value_kind:     by_value
      - .offset:         56
        .size:           8
        .value_kind:     by_value
      - .offset:         64
        .size:           8
        .value_kind:     by_value
      - .offset:         72
        .size:           8
        .value_kind:     by_value
      - .offset:         80
        .size:           8
        .value_kind:     by_value
      - .offset:         88
        .size:           8
        .value_kind:     by_value
      - .offset:         96
        .size:           8
        .value_kind:     by_value
      - .offset:         104
        .size:           8
        .value_kind:     by_value
      - .offset:         112
        .size:           8
        .value_kind:     by_value
      - .offset:         120
        .size:           8
        .value_kind:     by_value
      - .offset:         128
        .size:           4
        .value_kind:     hidden_block_count_x
      - .offset:         132
        .size:           4
        .value_kind:     hidden_block_count_y
      - .offset:         136
        .size:           4
        .value_kind:     hidden_block_count_z
      - .offset:         140
        .size:           2
        .value_kind:     hidden_group_size_x
      - .offset:         142
        .size:           2
        .value_kind:     hidden_group_size_y
      - .offset:         144
        .size:           2
        .value_kind:     hidden_group_size_z
      - .offset:         146
        .size:           2
        .value_kind:     hidden_remainder_x
      - .offset:         148
        .size:           2
        .value_kind:     hidden_remainder_y
      - .offset:         150
        .size:           2
        .value_kind:     hidden_remainder_z
      - .offset:         168
        .size:           8
        .value_kind:     hidden_global_offset_x
      - .offset:         176
        .size:           8
        .value_kind:     hidden_global_offset_y
      - .offset:         184
        .size:           8
        .value_kind:     hidden_global_offset_z
      - .offset:         192
        .size:           2
        .value_kind:     hidden_grid_dims
    .group_segment_fixed_size: 0
    .kernarg_segment_align: 8
    .kernarg_segment_size: 384
    .language:       OpenCL C
    .language_version:
      - 2
      - 0
    .max_flat_workgroup_size: 1024
    .name:           _ZL10k_get_rowsILi32ELi2EXadL_ZL15dequantize_q5_0PKvliR15HIP_vector_typeIfLj2EEEE6__halfEvS1_PKiPT2_llS2_IjLj3EEmmmmmmmmm
    .private_segment_fixed_size: 0
    .sgpr_count:     54
    .sgpr_spill_count: 0
    .symbol:         _ZL10k_get_rowsILi32ELi2EXadL_ZL15dequantize_q5_0PKvliR15HIP_vector_typeIfLj2EEEE6__halfEvS1_PKiPT2_llS2_IjLj3EEmmmmmmmmm.kd
    .uniform_work_group_size: 1
    .uses_dynamic_stack: false
    .vgpr_count:     19
    .vgpr_spill_count: 0
    .wavefront_size: 64
  - .args:
      - .actual_access:  read_only
        .address_space:  global
        .offset:         0
        .size:           8
        .value_kind:     global_buffer
      - .actual_access:  read_only
        .address_space:  global
        .offset:         8
        .size:           8
        .value_kind:     global_buffer
      - .actual_access:  write_only
        .address_space:  global
        .offset:         16
        .size:           8
        .value_kind:     global_buffer
      - .offset:         24
        .size:           8
        .value_kind:     by_value
      - .offset:         32
        .size:           8
        .value_kind:     by_value
      - .offset:         40
        .size:           12
        .value_kind:     by_value
      - .offset:         56
        .size:           8
        .value_kind:     by_value
      - .offset:         64
        .size:           8
        .value_kind:     by_value
      - .offset:         72
        .size:           8
        .value_kind:     by_value
      - .offset:         80
        .size:           8
        .value_kind:     by_value
      - .offset:         88
        .size:           8
        .value_kind:     by_value
      - .offset:         96
        .size:           8
        .value_kind:     by_value
      - .offset:         104
        .size:           8
        .value_kind:     by_value
      - .offset:         112
        .size:           8
        .value_kind:     by_value
      - .offset:         120
        .size:           8
        .value_kind:     by_value
      - .offset:         128
        .size:           4
        .value_kind:     hidden_block_count_x
      - .offset:         132
        .size:           4
        .value_kind:     hidden_block_count_y
      - .offset:         136
        .size:           4
        .value_kind:     hidden_block_count_z
      - .offset:         140
        .size:           2
        .value_kind:     hidden_group_size_x
      - .offset:         142
        .size:           2
        .value_kind:     hidden_group_size_y
      - .offset:         144
        .size:           2
        .value_kind:     hidden_group_size_z
      - .offset:         146
        .size:           2
        .value_kind:     hidden_remainder_x
      - .offset:         148
        .size:           2
        .value_kind:     hidden_remainder_y
      - .offset:         150
        .size:           2
        .value_kind:     hidden_remainder_z
      - .offset:         168
        .size:           8
        .value_kind:     hidden_global_offset_x
      - .offset:         176
        .size:           8
        .value_kind:     hidden_global_offset_y
      - .offset:         184
        .size:           8
        .value_kind:     hidden_global_offset_z
      - .offset:         192
        .size:           2
        .value_kind:     hidden_grid_dims
    .group_segment_fixed_size: 0
    .kernarg_segment_align: 8
    .kernarg_segment_size: 384
    .language:       OpenCL C
    .language_version:
      - 2
      - 0
    .max_flat_workgroup_size: 1024
    .name:           _ZL10k_get_rowsILi32ELi2EXadL_ZL15dequantize_q5_1PKvliR15HIP_vector_typeIfLj2EEEE6__halfEvS1_PKiPT2_llS2_IjLj3EEmmmmmmmmm
    .private_segment_fixed_size: 0
    .sgpr_count:     52
    .sgpr_spill_count: 0
    .symbol:         _ZL10k_get_rowsILi32ELi2EXadL_ZL15dequantize_q5_1PKvliR15HIP_vector_typeIfLj2EEEE6__halfEvS1_PKiPT2_llS2_IjLj3EEmmmmmmmmm.kd
    .uniform_work_group_size: 1
    .uses_dynamic_stack: false
    .vgpr_count:     19
    .vgpr_spill_count: 0
    .wavefront_size: 64
  - .args:
      - .actual_access:  read_only
        .address_space:  global
        .offset:         0
        .size:           8
        .value_kind:     global_buffer
      - .actual_access:  read_only
        .address_space:  global
        .offset:         8
        .size:           8
        .value_kind:     global_buffer
      - .actual_access:  write_only
        .address_space:  global
        .offset:         16
        .size:           8
        .value_kind:     global_buffer
      - .offset:         24
        .size:           8
        .value_kind:     by_value
      - .offset:         32
        .size:           8
        .value_kind:     by_value
      - .offset:         40
        .size:           12
        .value_kind:     by_value
      - .offset:         56
        .size:           8
        .value_kind:     by_value
      - .offset:         64
        .size:           8
        .value_kind:     by_value
      - .offset:         72
        .size:           8
        .value_kind:     by_value
      - .offset:         80
        .size:           8
        .value_kind:     by_value
      - .offset:         88
        .size:           8
        .value_kind:     by_value
      - .offset:         96
        .size:           8
        .value_kind:     by_value
      - .offset:         104
        .size:           8
        .value_kind:     by_value
      - .offset:         112
        .size:           8
        .value_kind:     by_value
      - .offset:         120
        .size:           8
        .value_kind:     by_value
      - .offset:         128
        .size:           4
        .value_kind:     hidden_block_count_x
      - .offset:         132
        .size:           4
        .value_kind:     hidden_block_count_y
      - .offset:         136
        .size:           4
        .value_kind:     hidden_block_count_z
      - .offset:         140
        .size:           2
        .value_kind:     hidden_group_size_x
      - .offset:         142
        .size:           2
        .value_kind:     hidden_group_size_y
      - .offset:         144
        .size:           2
        .value_kind:     hidden_group_size_z
      - .offset:         146
        .size:           2
        .value_kind:     hidden_remainder_x
      - .offset:         148
        .size:           2
        .value_kind:     hidden_remainder_y
      - .offset:         150
        .size:           2
        .value_kind:     hidden_remainder_z
      - .offset:         168
        .size:           8
        .value_kind:     hidden_global_offset_x
      - .offset:         176
        .size:           8
        .value_kind:     hidden_global_offset_y
      - .offset:         184
        .size:           8
        .value_kind:     hidden_global_offset_z
      - .offset:         192
        .size:           2
        .value_kind:     hidden_grid_dims
    .group_segment_fixed_size: 0
    .kernarg_segment_align: 8
    .kernarg_segment_size: 384
    .language:       OpenCL C
    .language_version:
      - 2
      - 0
    .max_flat_workgroup_size: 1024
    .name:           _ZL10k_get_rowsILi32ELi1EXadL_ZL15dequantize_q8_0PKvliR15HIP_vector_typeIfLj2EEEE6__halfEvS1_PKiPT2_llS2_IjLj3EEmmmmmmmmm
    .private_segment_fixed_size: 0
    .sgpr_count:     54
    .sgpr_spill_count: 0
    .symbol:         _ZL10k_get_rowsILi32ELi1EXadL_ZL15dequantize_q8_0PKvliR15HIP_vector_typeIfLj2EEEE6__halfEvS1_PKiPT2_llS2_IjLj3EEmmmmmmmmm.kd
    .uniform_work_group_size: 1
    .uses_dynamic_stack: false
    .vgpr_count:     21
    .vgpr_spill_count: 0
    .wavefront_size: 64
  - .args:
      - .address_space:  global
        .offset:         0
        .size:           8
        .value_kind:     global_buffer
      - .address_space:  global
        .offset:         8
        .size:           8
        .value_kind:     global_buffer
      - .address_space:  global
        .offset:         16
        .size:           8
        .value_kind:     global_buffer
      - .offset:         24
        .size:           8
        .value_kind:     by_value
      - .offset:         32
        .size:           8
        .value_kind:     by_value
      - .offset:         40
        .size:           12
        .value_kind:     by_value
      - .offset:         56
        .size:           8
        .value_kind:     by_value
      - .offset:         64
        .size:           8
        .value_kind:     by_value
      - .offset:         72
        .size:           8
        .value_kind:     by_value
      - .offset:         80
        .size:           8
        .value_kind:     by_value
      - .offset:         88
        .size:           8
        .value_kind:     by_value
      - .offset:         96
        .size:           8
        .value_kind:     by_value
      - .offset:         104
        .size:           8
        .value_kind:     by_value
      - .offset:         112
        .size:           8
        .value_kind:     by_value
      - .offset:         120
        .size:           8
        .value_kind:     by_value
      - .offset:         128
        .size:           4
        .value_kind:     hidden_block_count_x
      - .offset:         132
        .size:           4
        .value_kind:     hidden_block_count_y
      - .offset:         136
        .size:           4
        .value_kind:     hidden_block_count_z
      - .offset:         140
        .size:           2
        .value_kind:     hidden_group_size_x
      - .offset:         142
        .size:           2
        .value_kind:     hidden_group_size_y
      - .offset:         144
        .size:           2
        .value_kind:     hidden_group_size_z
      - .offset:         146
        .size:           2
        .value_kind:     hidden_remainder_x
      - .offset:         148
        .size:           2
        .value_kind:     hidden_remainder_y
      - .offset:         150
        .size:           2
        .value_kind:     hidden_remainder_z
      - .offset:         168
        .size:           8
        .value_kind:     hidden_global_offset_x
      - .offset:         176
        .size:           8
        .value_kind:     hidden_global_offset_y
      - .offset:         184
        .size:           8
        .value_kind:     hidden_global_offset_z
      - .offset:         192
        .size:           2
        .value_kind:     hidden_grid_dims
    .group_segment_fixed_size: 0
    .kernarg_segment_align: 8
    .kernarg_segment_size: 384
    .language:       OpenCL C
    .language_version:
      - 2
      - 0
    .max_flat_workgroup_size: 1024
    .name:           _ZL16k_get_rows_floatI6__half14__hip_bfloat16EvPKT_PKiPT0_ll15HIP_vector_typeIjLj3EEmmmmmmmmm
    .private_segment_fixed_size: 0
    .sgpr_count:     49
    .sgpr_spill_count: 0
    .symbol:         _ZL16k_get_rows_floatI6__half14__hip_bfloat16EvPKT_PKiPT0_ll15HIP_vector_typeIjLj3EEmmmmmmmmm.kd
    .uniform_work_group_size: 1
    .uses_dynamic_stack: false
    .vgpr_count:     19
    .vgpr_spill_count: 0
    .wavefront_size: 64
  - .args:
      - .address_space:  global
        .offset:         0
        .size:           8
        .value_kind:     global_buffer
      - .address_space:  global
        .offset:         8
        .size:           8
        .value_kind:     global_buffer
      - .address_space:  global
        .offset:         16
        .size:           8
        .value_kind:     global_buffer
      - .offset:         24
        .size:           8
        .value_kind:     by_value
      - .offset:         32
        .size:           8
        .value_kind:     by_value
      - .offset:         40
        .size:           12
        .value_kind:     by_value
      - .offset:         56
        .size:           8
        .value_kind:     by_value
      - .offset:         64
        .size:           8
        .value_kind:     by_value
      - .offset:         72
        .size:           8
        .value_kind:     by_value
      - .offset:         80
        .size:           8
        .value_kind:     by_value
      - .offset:         88
        .size:           8
        .value_kind:     by_value
      - .offset:         96
        .size:           8
        .value_kind:     by_value
      - .offset:         104
        .size:           8
        .value_kind:     by_value
      - .offset:         112
        .size:           8
        .value_kind:     by_value
      - .offset:         120
        .size:           8
        .value_kind:     by_value
      - .offset:         128
        .size:           4
        .value_kind:     hidden_block_count_x
      - .offset:         132
        .size:           4
        .value_kind:     hidden_block_count_y
      - .offset:         136
        .size:           4
        .value_kind:     hidden_block_count_z
      - .offset:         140
        .size:           2
        .value_kind:     hidden_group_size_x
      - .offset:         142
        .size:           2
        .value_kind:     hidden_group_size_y
      - .offset:         144
        .size:           2
        .value_kind:     hidden_group_size_z
      - .offset:         146
        .size:           2
        .value_kind:     hidden_remainder_x
      - .offset:         148
        .size:           2
        .value_kind:     hidden_remainder_y
      - .offset:         150
        .size:           2
        .value_kind:     hidden_remainder_z
      - .offset:         168
        .size:           8
        .value_kind:     hidden_global_offset_x
      - .offset:         176
        .size:           8
        .value_kind:     hidden_global_offset_y
      - .offset:         184
        .size:           8
        .value_kind:     hidden_global_offset_z
      - .offset:         192
        .size:           2
        .value_kind:     hidden_grid_dims
    .group_segment_fixed_size: 0
    .kernarg_segment_align: 8
    .kernarg_segment_size: 384
    .language:       OpenCL C
    .language_version:
      - 2
      - 0
    .max_flat_workgroup_size: 1024
    .name:           _ZL16k_get_rows_floatIf14__hip_bfloat16EvPKT_PKiPT0_ll15HIP_vector_typeIjLj3EEmmmmmmmmm
    .private_segment_fixed_size: 0
    .sgpr_count:     52
    .sgpr_spill_count: 0
    .symbol:         _ZL16k_get_rows_floatIf14__hip_bfloat16EvPKT_PKiPT0_ll15HIP_vector_typeIjLj3EEmmmmmmmmm.kd
    .uniform_work_group_size: 1
    .uses_dynamic_stack: false
    .vgpr_count:     18
    .vgpr_spill_count: 0
    .wavefront_size: 64
  - .args:
      - .address_space:  global
        .offset:         0
        .size:           8
        .value_kind:     global_buffer
      - .address_space:  global
        .offset:         8
        .size:           8
        .value_kind:     global_buffer
      - .address_space:  global
        .offset:         16
        .size:           8
        .value_kind:     global_buffer
      - .offset:         24
        .size:           8
        .value_kind:     by_value
      - .offset:         32
        .size:           8
        .value_kind:     by_value
      - .offset:         40
        .size:           12
        .value_kind:     by_value
      - .offset:         56
        .size:           8
        .value_kind:     by_value
      - .offset:         64
        .size:           8
        .value_kind:     by_value
      - .offset:         72
        .size:           8
        .value_kind:     by_value
      - .offset:         80
        .size:           8
        .value_kind:     by_value
      - .offset:         88
        .size:           8
        .value_kind:     by_value
      - .offset:         96
        .size:           8
        .value_kind:     by_value
      - .offset:         104
        .size:           8
        .value_kind:     by_value
      - .offset:         112
        .size:           8
        .value_kind:     by_value
      - .offset:         120
        .size:           8
        .value_kind:     by_value
      - .offset:         128
        .size:           4
        .value_kind:     hidden_block_count_x
      - .offset:         132
        .size:           4
        .value_kind:     hidden_block_count_y
      - .offset:         136
        .size:           4
        .value_kind:     hidden_block_count_z
      - .offset:         140
        .size:           2
        .value_kind:     hidden_group_size_x
      - .offset:         142
        .size:           2
        .value_kind:     hidden_group_size_y
      - .offset:         144
        .size:           2
        .value_kind:     hidden_group_size_z
      - .offset:         146
        .size:           2
        .value_kind:     hidden_remainder_x
      - .offset:         148
        .size:           2
        .value_kind:     hidden_remainder_y
      - .offset:         150
        .size:           2
        .value_kind:     hidden_remainder_z
      - .offset:         168
        .size:           8
        .value_kind:     hidden_global_offset_x
      - .offset:         176
        .size:           8
        .value_kind:     hidden_global_offset_y
      - .offset:         184
        .size:           8
        .value_kind:     hidden_global_offset_z
      - .offset:         192
        .size:           2
        .value_kind:     hidden_grid_dims
    .group_segment_fixed_size: 0
    .kernarg_segment_align: 8
    .kernarg_segment_size: 384
    .language:       OpenCL C
    .language_version:
      - 2
      - 0
    .max_flat_workgroup_size: 1024
    .name:           _ZL16k_get_rows_floatIi14__hip_bfloat16EvPKT_PKiPT0_ll15HIP_vector_typeIjLj3EEmmmmmmmmm
    .private_segment_fixed_size: 0
    .sgpr_count:     52
    .sgpr_spill_count: 0
    .symbol:         _ZL16k_get_rows_floatIi14__hip_bfloat16EvPKT_PKiPT0_ll15HIP_vector_typeIjLj3EEmmmmmmmmm.kd
    .uniform_work_group_size: 1
    .uses_dynamic_stack: false
    .vgpr_count:     18
    .vgpr_spill_count: 0
    .wavefront_size: 64
  - .args:
      - .address_space:  global
        .offset:         0
        .size:           8
        .value_kind:     global_buffer
      - .address_space:  global
        .offset:         8
        .size:           8
        .value_kind:     global_buffer
      - .address_space:  global
        .offset:         16
        .size:           8
        .value_kind:     global_buffer
      - .offset:         24
        .size:           8
        .value_kind:     by_value
      - .offset:         32
        .size:           8
        .value_kind:     by_value
      - .offset:         40
        .size:           12
        .value_kind:     by_value
      - .offset:         56
        .size:           8
        .value_kind:     by_value
      - .offset:         64
        .size:           8
        .value_kind:     by_value
      - .offset:         72
        .size:           8
        .value_kind:     by_value
      - .offset:         80
        .size:           8
        .value_kind:     by_value
      - .offset:         88
        .size:           8
        .value_kind:     by_value
      - .offset:         96
        .size:           8
        .value_kind:     by_value
      - .offset:         104
        .size:           8
        .value_kind:     by_value
      - .offset:         112
        .size:           8
        .value_kind:     by_value
      - .offset:         120
        .size:           8
        .value_kind:     by_value
      - .offset:         128
        .size:           4
        .value_kind:     hidden_block_count_x
      - .offset:         132
        .size:           4
        .value_kind:     hidden_block_count_y
      - .offset:         136
        .size:           4
        .value_kind:     hidden_block_count_z
      - .offset:         140
        .size:           2
        .value_kind:     hidden_group_size_x
      - .offset:         142
        .size:           2
        .value_kind:     hidden_group_size_y
      - .offset:         144
        .size:           2
        .value_kind:     hidden_group_size_z
      - .offset:         146
        .size:           2
        .value_kind:     hidden_remainder_x
      - .offset:         148
        .size:           2
        .value_kind:     hidden_remainder_y
      - .offset:         150
        .size:           2
        .value_kind:     hidden_remainder_z
      - .offset:         168
        .size:           8
        .value_kind:     hidden_global_offset_x
      - .offset:         176
        .size:           8
        .value_kind:     hidden_global_offset_y
      - .offset:         184
        .size:           8
        .value_kind:     hidden_global_offset_z
      - .offset:         192
        .size:           2
        .value_kind:     hidden_grid_dims
    .group_segment_fixed_size: 0
    .kernarg_segment_align: 8
    .kernarg_segment_size: 384
    .language:       OpenCL C
    .language_version:
      - 2
      - 0
    .max_flat_workgroup_size: 1024
    .name:           _ZL16k_get_rows_floatI14__hip_bfloat16S0_EvPKT_PKiPT0_ll15HIP_vector_typeIjLj3EEmmmmmmmmm
    .private_segment_fixed_size: 0
    .sgpr_count:     48
    .sgpr_spill_count: 0
    .symbol:         _ZL16k_get_rows_floatI14__hip_bfloat16S0_EvPKT_PKiPT0_ll15HIP_vector_typeIjLj3EEmmmmmmmmm.kd
    .uniform_work_group_size: 1
    .uses_dynamic_stack: false
    .vgpr_count:     19
    .vgpr_spill_count: 0
    .wavefront_size: 64
  - .args:
      - .actual_access:  read_only
        .address_space:  global
        .offset:         0
        .size:           8
        .value_kind:     global_buffer
      - .actual_access:  read_only
        .address_space:  global
        .offset:         8
        .size:           8
        .value_kind:     global_buffer
      - .actual_access:  write_only
        .address_space:  global
        .offset:         16
        .size:           8
        .value_kind:     global_buffer
      - .offset:         24
        .size:           8
        .value_kind:     by_value
      - .offset:         32
        .size:           8
        .value_kind:     by_value
      - .offset:         40
        .size:           12
        .value_kind:     by_value
      - .offset:         56
        .size:           8
        .value_kind:     by_value
      - .offset:         64
        .size:           8
        .value_kind:     by_value
      - .offset:         72
        .size:           8
        .value_kind:     by_value
      - .offset:         80
        .size:           8
        .value_kind:     by_value
      - .offset:         88
        .size:           8
        .value_kind:     by_value
      - .offset:         96
        .size:           8
        .value_kind:     by_value
      - .offset:         104
        .size:           8
        .value_kind:     by_value
      - .offset:         112
        .size:           8
        .value_kind:     by_value
      - .offset:         120
        .size:           8
        .value_kind:     by_value
      - .offset:         128
        .size:           4
        .value_kind:     hidden_block_count_x
      - .offset:         132
        .size:           4
        .value_kind:     hidden_block_count_y
      - .offset:         136
        .size:           4
        .value_kind:     hidden_block_count_z
      - .offset:         140
        .size:           2
        .value_kind:     hidden_group_size_x
      - .offset:         142
        .size:           2
        .value_kind:     hidden_group_size_y
      - .offset:         144
        .size:           2
        .value_kind:     hidden_group_size_z
      - .offset:         146
        .size:           2
        .value_kind:     hidden_remainder_x
      - .offset:         148
        .size:           2
        .value_kind:     hidden_remainder_y
      - .offset:         150
        .size:           2
        .value_kind:     hidden_remainder_z
      - .offset:         168
        .size:           8
        .value_kind:     hidden_global_offset_x
      - .offset:         176
        .size:           8
        .value_kind:     hidden_global_offset_y
      - .offset:         184
        .size:           8
        .value_kind:     hidden_global_offset_z
      - .offset:         192
        .size:           2
        .value_kind:     hidden_grid_dims
    .group_segment_fixed_size: 0
    .kernarg_segment_align: 8
    .kernarg_segment_size: 384
    .language:       OpenCL C
    .language_version:
      - 2
      - 0
    .max_flat_workgroup_size: 1024
    .name:           _ZL10k_get_rowsILi128ELi1EXadL_ZL15dequantize_q1_0PKvliR15HIP_vector_typeIfLj2EEEE14__hip_bfloat16EvS1_PKiPT2_llS2_IjLj3EEmmmmmmmmm
    .private_segment_fixed_size: 0
    .sgpr_count:     56
    .sgpr_spill_count: 0
    .symbol:         _ZL10k_get_rowsILi128ELi1EXadL_ZL15dequantize_q1_0PKvliR15HIP_vector_typeIfLj2EEEE14__hip_bfloat16EvS1_PKiPT2_llS2_IjLj3EEmmmmmmmmm.kd
    .uniform_work_group_size: 1
    .uses_dynamic_stack: false
    .vgpr_count:     25
    .vgpr_spill_count: 0
    .wavefront_size: 64
  - .args:
      - .actual_access:  read_only
        .address_space:  global
        .offset:         0
        .size:           8
        .value_kind:     global_buffer
      - .actual_access:  read_only
        .address_space:  global
        .offset:         8
        .size:           8
        .value_kind:     global_buffer
      - .actual_access:  write_only
        .address_space:  global
        .offset:         16
        .size:           8
        .value_kind:     global_buffer
      - .offset:         24
        .size:           8
        .value_kind:     by_value
      - .offset:         32
        .size:           8
        .value_kind:     by_value
      - .offset:         40
        .size:           12
        .value_kind:     by_value
      - .offset:         56
        .size:           8
        .value_kind:     by_value
      - .offset:         64
        .size:           8
        .value_kind:     by_value
      - .offset:         72
        .size:           8
        .value_kind:     by_value
      - .offset:         80
        .size:           8
        .value_kind:     by_value
      - .offset:         88
        .size:           8
        .value_kind:     by_value
      - .offset:         96
        .size:           8
        .value_kind:     by_value
      - .offset:         104
        .size:           8
        .value_kind:     by_value
      - .offset:         112
        .size:           8
        .value_kind:     by_value
      - .offset:         120
        .size:           8
        .value_kind:     by_value
      - .offset:         128
        .size:           4
        .value_kind:     hidden_block_count_x
      - .offset:         132
        .size:           4
        .value_kind:     hidden_block_count_y
      - .offset:         136
        .size:           4
        .value_kind:     hidden_block_count_z
      - .offset:         140
        .size:           2
        .value_kind:     hidden_group_size_x
      - .offset:         142
        .size:           2
        .value_kind:     hidden_group_size_y
      - .offset:         144
        .size:           2
        .value_kind:     hidden_group_size_z
      - .offset:         146
        .size:           2
        .value_kind:     hidden_remainder_x
      - .offset:         148
        .size:           2
        .value_kind:     hidden_remainder_y
      - .offset:         150
        .size:           2
        .value_kind:     hidden_remainder_z
      - .offset:         168
        .size:           8
        .value_kind:     hidden_global_offset_x
      - .offset:         176
        .size:           8
        .value_kind:     hidden_global_offset_y
      - .offset:         184
        .size:           8
        .value_kind:     hidden_global_offset_z
      - .offset:         192
        .size:           2
        .value_kind:     hidden_grid_dims
    .group_segment_fixed_size: 0
    .kernarg_segment_align: 8
    .kernarg_segment_size: 384
    .language:       OpenCL C
    .language_version:
      - 2
      - 0
    .max_flat_workgroup_size: 1024
    .name:           _ZL10k_get_rowsILi32ELi2EXadL_ZL15dequantize_q4_0PKvliR15HIP_vector_typeIfLj2EEEE14__hip_bfloat16EvS1_PKiPT2_llS2_IjLj3EEmmmmmmmmm
    .private_segment_fixed_size: 0
    .sgpr_count:     54
    .sgpr_spill_count: 0
    .symbol:         _ZL10k_get_rowsILi32ELi2EXadL_ZL15dequantize_q4_0PKvliR15HIP_vector_typeIfLj2EEEE14__hip_bfloat16EvS1_PKiPT2_llS2_IjLj3EEmmmmmmmmm.kd
    .uniform_work_group_size: 1
    .uses_dynamic_stack: false
    .vgpr_count:     20
    .vgpr_spill_count: 0
    .wavefront_size: 64
  - .args:
      - .actual_access:  read_only
        .address_space:  global
        .offset:         0
        .size:           8
        .value_kind:     global_buffer
      - .actual_access:  read_only
        .address_space:  global
        .offset:         8
        .size:           8
        .value_kind:     global_buffer
      - .actual_access:  write_only
        .address_space:  global
        .offset:         16
        .size:           8
        .value_kind:     global_buffer
      - .offset:         24
        .size:           8
        .value_kind:     by_value
      - .offset:         32
        .size:           8
        .value_kind:     by_value
      - .offset:         40
        .size:           12
        .value_kind:     by_value
      - .offset:         56
        .size:           8
        .value_kind:     by_value
      - .offset:         64
        .size:           8
        .value_kind:     by_value
      - .offset:         72
        .size:           8
        .value_kind:     by_value
      - .offset:         80
        .size:           8
        .value_kind:     by_value
      - .offset:         88
        .size:           8
        .value_kind:     by_value
      - .offset:         96
        .size:           8
        .value_kind:     by_value
      - .offset:         104
        .size:           8
        .value_kind:     by_value
      - .offset:         112
        .size:           8
        .value_kind:     by_value
      - .offset:         120
        .size:           8
        .value_kind:     by_value
      - .offset:         128
        .size:           4
        .value_kind:     hidden_block_count_x
      - .offset:         132
        .size:           4
        .value_kind:     hidden_block_count_y
      - .offset:         136
        .size:           4
        .value_kind:     hidden_block_count_z
      - .offset:         140
        .size:           2
        .value_kind:     hidden_group_size_x
      - .offset:         142
        .size:           2
        .value_kind:     hidden_group_size_y
      - .offset:         144
        .size:           2
        .value_kind:     hidden_group_size_z
      - .offset:         146
        .size:           2
        .value_kind:     hidden_remainder_x
      - .offset:         148
        .size:           2
        .value_kind:     hidden_remainder_y
      - .offset:         150
        .size:           2
        .value_kind:     hidden_remainder_z
      - .offset:         168
        .size:           8
        .value_kind:     hidden_global_offset_x
      - .offset:         176
        .size:           8
        .value_kind:     hidden_global_offset_y
      - .offset:         184
        .size:           8
        .value_kind:     hidden_global_offset_z
      - .offset:         192
        .size:           2
        .value_kind:     hidden_grid_dims
    .group_segment_fixed_size: 0
    .kernarg_segment_align: 8
    .kernarg_segment_size: 384
    .language:       OpenCL C
    .language_version:
      - 2
      - 0
    .max_flat_workgroup_size: 1024
    .name:           _ZL10k_get_rowsILi32ELi2EXadL_ZL15dequantize_q4_1PKvliR15HIP_vector_typeIfLj2EEEE14__hip_bfloat16EvS1_PKiPT2_llS2_IjLj3EEmmmmmmmmm
    .private_segment_fixed_size: 0
    .sgpr_count:     54
    .sgpr_spill_count: 0
    .symbol:         _ZL10k_get_rowsILi32ELi2EXadL_ZL15dequantize_q4_1PKvliR15HIP_vector_typeIfLj2EEEE14__hip_bfloat16EvS1_PKiPT2_llS2_IjLj3EEmmmmmmmmm.kd
    .uniform_work_group_size: 1
    .uses_dynamic_stack: false
    .vgpr_count:     20
    .vgpr_spill_count: 0
    .wavefront_size: 64
  - .args:
      - .actual_access:  read_only
        .address_space:  global
        .offset:         0
        .size:           8
        .value_kind:     global_buffer
      - .actual_access:  read_only
        .address_space:  global
        .offset:         8
        .size:           8
        .value_kind:     global_buffer
      - .actual_access:  write_only
        .address_space:  global
        .offset:         16
        .size:           8
        .value_kind:     global_buffer
      - .offset:         24
        .size:           8
        .value_kind:     by_value
      - .offset:         32
        .size:           8
        .value_kind:     by_value
      - .offset:         40
        .size:           12
        .value_kind:     by_value
      - .offset:         56
        .size:           8
        .value_kind:     by_value
      - .offset:         64
        .size:           8
        .value_kind:     by_value
      - .offset:         72
        .size:           8
        .value_kind:     by_value
      - .offset:         80
        .size:           8
        .value_kind:     by_value
      - .offset:         88
        .size:           8
        .value_kind:     by_value
      - .offset:         96
        .size:           8
        .value_kind:     by_value
      - .offset:         104
        .size:           8
        .value_kind:     by_value
      - .offset:         112
        .size:           8
        .value_kind:     by_value
      - .offset:         120
        .size:           8
        .value_kind:     by_value
      - .offset:         128
        .size:           4
        .value_kind:     hidden_block_count_x
      - .offset:         132
        .size:           4
        .value_kind:     hidden_block_count_y
      - .offset:         136
        .size:           4
        .value_kind:     hidden_block_count_z
      - .offset:         140
        .size:           2
        .value_kind:     hidden_group_size_x
      - .offset:         142
        .size:           2
        .value_kind:     hidden_group_size_y
      - .offset:         144
        .size:           2
        .value_kind:     hidden_group_size_z
      - .offset:         146
        .size:           2
        .value_kind:     hidden_remainder_x
      - .offset:         148
        .size:           2
        .value_kind:     hidden_remainder_y
      - .offset:         150
        .size:           2
        .value_kind:     hidden_remainder_z
      - .offset:         168
        .size:           8
        .value_kind:     hidden_global_offset_x
      - .offset:         176
        .size:           8
        .value_kind:     hidden_global_offset_y
      - .offset:         184
        .size:           8
        .value_kind:     hidden_global_offset_z
      - .offset:         192
        .size:           2
        .value_kind:     hidden_grid_dims
    .group_segment_fixed_size: 0
    .kernarg_segment_align: 8
    .kernarg_segment_size: 384
    .language:       OpenCL C
    .language_version:
      - 2
      - 0
    .max_flat_workgroup_size: 1024
    .name:           _ZL10k_get_rowsILi32ELi2EXadL_ZL15dequantize_q5_0PKvliR15HIP_vector_typeIfLj2EEEE14__hip_bfloat16EvS1_PKiPT2_llS2_IjLj3EEmmmmmmmmm
    .private_segment_fixed_size: 0
    .sgpr_count:     56
    .sgpr_spill_count: 0
    .symbol:         _ZL10k_get_rowsILi32ELi2EXadL_ZL15dequantize_q5_0PKvliR15HIP_vector_typeIfLj2EEEE14__hip_bfloat16EvS1_PKiPT2_llS2_IjLj3EEmmmmmmmmm.kd
    .uniform_work_group_size: 1
    .uses_dynamic_stack: false
    .vgpr_count:     18
    .vgpr_spill_count: 0
    .wavefront_size: 64
  - .args:
      - .actual_access:  read_only
        .address_space:  global
        .offset:         0
        .size:           8
        .value_kind:     global_buffer
      - .actual_access:  read_only
        .address_space:  global
        .offset:         8
        .size:           8
        .value_kind:     global_buffer
      - .actual_access:  write_only
        .address_space:  global
        .offset:         16
        .size:           8
        .value_kind:     global_buffer
      - .offset:         24
        .size:           8
        .value_kind:     by_value
      - .offset:         32
        .size:           8
        .value_kind:     by_value
      - .offset:         40
        .size:           12
        .value_kind:     by_value
      - .offset:         56
        .size:           8
        .value_kind:     by_value
      - .offset:         64
        .size:           8
        .value_kind:     by_value
      - .offset:         72
        .size:           8
        .value_kind:     by_value
      - .offset:         80
        .size:           8
        .value_kind:     by_value
      - .offset:         88
        .size:           8
        .value_kind:     by_value
      - .offset:         96
        .size:           8
        .value_kind:     by_value
      - .offset:         104
        .size:           8
        .value_kind:     by_value
      - .offset:         112
        .size:           8
        .value_kind:     by_value
      - .offset:         120
        .size:           8
        .value_kind:     by_value
      - .offset:         128
        .size:           4
        .value_kind:     hidden_block_count_x
      - .offset:         132
        .size:           4
        .value_kind:     hidden_block_count_y
      - .offset:         136
        .size:           4
        .value_kind:     hidden_block_count_z
      - .offset:         140
        .size:           2
        .value_kind:     hidden_group_size_x
      - .offset:         142
        .size:           2
        .value_kind:     hidden_group_size_y
      - .offset:         144
        .size:           2
        .value_kind:     hidden_group_size_z
      - .offset:         146
        .size:           2
        .value_kind:     hidden_remainder_x
      - .offset:         148
        .size:           2
        .value_kind:     hidden_remainder_y
      - .offset:         150
        .size:           2
        .value_kind:     hidden_remainder_z
      - .offset:         168
        .size:           8
        .value_kind:     hidden_global_offset_x
      - .offset:         176
        .size:           8
        .value_kind:     hidden_global_offset_y
      - .offset:         184
        .size:           8
        .value_kind:     hidden_global_offset_z
      - .offset:         192
        .size:           2
        .value_kind:     hidden_grid_dims
    .group_segment_fixed_size: 0
    .kernarg_segment_align: 8
    .kernarg_segment_size: 384
    .language:       OpenCL C
    .language_version:
      - 2
      - 0
    .max_flat_workgroup_size: 1024
    .name:           _ZL10k_get_rowsILi32ELi2EXadL_ZL15dequantize_q5_1PKvliR15HIP_vector_typeIfLj2EEEE14__hip_bfloat16EvS1_PKiPT2_llS2_IjLj3EEmmmmmmmmm
    .private_segment_fixed_size: 0
    .sgpr_count:     54
    .sgpr_spill_count: 0
    .symbol:         _ZL10k_get_rowsILi32ELi2EXadL_ZL15dequantize_q5_1PKvliR15HIP_vector_typeIfLj2EEEE14__hip_bfloat16EvS1_PKiPT2_llS2_IjLj3EEmmmmmmmmm.kd
    .uniform_work_group_size: 1
    .uses_dynamic_stack: false
    .vgpr_count:     20
    .vgpr_spill_count: 0
    .wavefront_size: 64
  - .args:
      - .actual_access:  read_only
        .address_space:  global
        .offset:         0
        .size:           8
        .value_kind:     global_buffer
      - .actual_access:  read_only
        .address_space:  global
        .offset:         8
        .size:           8
        .value_kind:     global_buffer
      - .actual_access:  write_only
        .address_space:  global
        .offset:         16
        .size:           8
        .value_kind:     global_buffer
      - .offset:         24
        .size:           8
        .value_kind:     by_value
      - .offset:         32
        .size:           8
        .value_kind:     by_value
      - .offset:         40
        .size:           12
        .value_kind:     by_value
      - .offset:         56
        .size:           8
        .value_kind:     by_value
      - .offset:         64
        .size:           8
        .value_kind:     by_value
      - .offset:         72
        .size:           8
        .value_kind:     by_value
      - .offset:         80
        .size:           8
        .value_kind:     by_value
      - .offset:         88
        .size:           8
        .value_kind:     by_value
      - .offset:         96
        .size:           8
        .value_kind:     by_value
      - .offset:         104
        .size:           8
        .value_kind:     by_value
      - .offset:         112
        .size:           8
        .value_kind:     by_value
      - .offset:         120
        .size:           8
        .value_kind:     by_value
      - .offset:         128
        .size:           4
        .value_kind:     hidden_block_count_x
      - .offset:         132
        .size:           4
        .value_kind:     hidden_block_count_y
      - .offset:         136
        .size:           4
        .value_kind:     hidden_block_count_z
      - .offset:         140
        .size:           2
        .value_kind:     hidden_group_size_x
      - .offset:         142
        .size:           2
        .value_kind:     hidden_group_size_y
      - .offset:         144
        .size:           2
        .value_kind:     hidden_group_size_z
      - .offset:         146
        .size:           2
        .value_kind:     hidden_remainder_x
      - .offset:         148
        .size:           2
        .value_kind:     hidden_remainder_y
      - .offset:         150
        .size:           2
        .value_kind:     hidden_remainder_z
      - .offset:         168
        .size:           8
        .value_kind:     hidden_global_offset_x
      - .offset:         176
        .size:           8
        .value_kind:     hidden_global_offset_y
      - .offset:         184
        .size:           8
        .value_kind:     hidden_global_offset_z
      - .offset:         192
        .size:           2
        .value_kind:     hidden_grid_dims
    .group_segment_fixed_size: 0
    .kernarg_segment_align: 8
    .kernarg_segment_size: 384
    .language:       OpenCL C
    .language_version:
      - 2
      - 0
    .max_flat_workgroup_size: 1024
    .name:           _ZL10k_get_rowsILi32ELi1EXadL_ZL15dequantize_q8_0PKvliR15HIP_vector_typeIfLj2EEEE14__hip_bfloat16EvS1_PKiPT2_llS2_IjLj3EEmmmmmmmmm
    .private_segment_fixed_size: 0
    .sgpr_count:     56
    .sgpr_spill_count: 0
    .symbol:         _ZL10k_get_rowsILi32ELi1EXadL_ZL15dequantize_q8_0PKvliR15HIP_vector_typeIfLj2EEEE14__hip_bfloat16EvS1_PKiPT2_llS2_IjLj3EEmmmmmmmmm.kd
    .uniform_work_group_size: 1
    .uses_dynamic_stack: false
    .vgpr_count:     23
    .vgpr_spill_count: 0
    .wavefront_size: 64
  - .args:
      - .actual_access:  read_only
        .address_space:  global
        .offset:         0
        .size:           8
        .value_kind:     global_buffer
      - .actual_access:  read_only
        .address_space:  global
        .offset:         8
        .size:           8
        .value_kind:     global_buffer
      - .actual_access:  write_only
        .address_space:  global
        .offset:         16
        .size:           8
        .value_kind:     global_buffer
      - .offset:         24
        .size:           8
        .value_kind:     by_value
      - .offset:         32
        .size:           8
        .value_kind:     by_value
      - .offset:         40
        .size:           4
        .value_kind:     hidden_block_count_x
      - .offset:         44
        .size:           4
        .value_kind:     hidden_block_count_y
      - .offset:         48
        .size:           4
        .value_kind:     hidden_block_count_z
      - .offset:         52
        .size:           2
        .value_kind:     hidden_group_size_x
      - .offset:         54
        .size:           2
        .value_kind:     hidden_group_size_y
      - .offset:         56
        .size:           2
        .value_kind:     hidden_group_size_z
      - .offset:         58
        .size:           2
        .value_kind:     hidden_remainder_x
      - .offset:         60
        .size:           2
        .value_kind:     hidden_remainder_y
      - .offset:         62
        .size:           2
        .value_kind:     hidden_remainder_z
      - .offset:         80
        .size:           8
        .value_kind:     hidden_global_offset_x
      - .offset:         88
        .size:           8
        .value_kind:     hidden_global_offset_y
      - .offset:         96
        .size:           8
        .value_kind:     hidden_global_offset_z
      - .offset:         104
        .size:           2
        .value_kind:     hidden_grid_dims
    .group_segment_fixed_size: 0
    .kernarg_segment_align: 8
    .kernarg_segment_size: 296
    .language:       OpenCL C
    .language_version:
      - 2
      - 0
    .max_flat_workgroup_size: 1024
    .name:           _ZL21k_get_rows_back_floatIffEvPKT_PKiPT0_ll
    .private_segment_fixed_size: 0
    .sgpr_count:     16
    .sgpr_spill_count: 0
    .symbol:         _ZL21k_get_rows_back_floatIffEvPKT_PKiPT0_ll.kd
    .uniform_work_group_size: 1
    .uses_dynamic_stack: false
    .vgpr_count:     8
    .vgpr_spill_count: 0
    .wavefront_size: 64
amdhsa.target:   amdgcn-amd-amdhsa--gfx906
amdhsa.version:
  - 1
  - 2
...

	.end_amdgpu_metadata
